;; amdgpu-corpus repo=ROCm/rocFFT kind=compiled arch=gfx1030 opt=O3
	.text
	.amdgcn_target "amdgcn-amd-amdhsa--gfx1030"
	.amdhsa_code_object_version 6
	.protected	bluestein_single_back_len1183_dim1_half_op_CI_CI ; -- Begin function bluestein_single_back_len1183_dim1_half_op_CI_CI
	.globl	bluestein_single_back_len1183_dim1_half_op_CI_CI
	.p2align	8
	.type	bluestein_single_back_len1183_dim1_half_op_CI_CI,@function
bluestein_single_back_len1183_dim1_half_op_CI_CI: ; @bluestein_single_back_len1183_dim1_half_op_CI_CI
; %bb.0:
	s_load_dwordx4 s[12:15], s[4:5], 0x28
	v_mul_u32_u24_e32 v1, 0x2d1, v0
	v_mov_b32_e32 v29, 0
	s_mov_b32 s0, exec_lo
	v_lshrrev_b32_e32 v2, 16, v1
	v_lshl_add_u32 v28, s6, 1, v2
	s_waitcnt lgkmcnt(0)
	v_cmpx_gt_u64_e64 s[12:13], v[28:29]
	s_cbranch_execz .LBB0_15
; %bb.1:
	s_clause 0x1
	s_load_dwordx4 s[8:11], s[4:5], 0x18
	s_load_dwordx2 s[6:7], s[4:5], 0x0
	v_mul_lo_u16 v1, 0x5b, v2
	v_sub_nc_u16 v8, v0, v1
	v_and_b32_e32 v49, 0xffff, v8
	v_lshlrev_b32_e32 v9, 2, v49
	s_waitcnt lgkmcnt(0)
	s_load_dwordx4 s[0:3], s[8:9], 0x0
	s_clause 0x3
	global_load_dword v51, v9, s[6:7]
	global_load_dword v50, v9, s[6:7] offset:676
	global_load_dword v48, v9, s[6:7] offset:1352
	;; [unrolled: 1-line block ×3, first 2 shown]
	s_waitcnt lgkmcnt(0)
	v_mad_u64_u32 v[0:1], null, s2, v28, 0
	v_mad_u64_u32 v[3:4], null, s0, v49, 0
	v_add_co_u32 v26, s2, s6, v9
	s_mul_hi_u32 s8, s0, 0xa9
	v_add_co_ci_u32_e64 v27, null, s7, 0, s2
	v_mad_u64_u32 v[5:6], null, s3, v28, v[1:2]
	s_mul_i32 s3, s1, 0xa9
	s_mul_i32 s2, s0, 0xa9
	s_add_i32 s3, s8, s3
	v_and_b32_e32 v2, 1, v2
	s_lshl_b64 s[2:3], s[2:3], 2
	s_load_dwordx2 s[6:7], s[4:5], 0x38
	v_mad_u64_u32 v[6:7], null, s1, v49, v[4:5]
	v_mov_b32_e32 v1, v5
	v_lshlrev_b64 v[0:1], 2, v[0:1]
	v_mov_b32_e32 v4, v6
	v_add_co_u32 v0, vcc_lo, s14, v0
	v_lshlrev_b64 v[3:4], 2, v[3:4]
	v_add_co_ci_u32_e32 v1, vcc_lo, s15, v1, vcc_lo
	v_add_co_u32 v0, vcc_lo, v0, v3
	v_add_co_ci_u32_e32 v1, vcc_lo, v1, v4, vcc_lo
	global_load_dword v7, v[0:1], off
	v_add_co_u32 v0, vcc_lo, v0, s2
	v_add_co_ci_u32_e32 v1, vcc_lo, s3, v1, vcc_lo
	v_add_co_u32 v24, vcc_lo, 0x800, v26
	v_add_co_ci_u32_e32 v25, vcc_lo, 0, v27, vcc_lo
	;; [unrolled: 2-line block ×3, first 2 shown]
	s_clause 0x1
	global_load_dword v10, v[0:1], off
	global_load_dword v11, v[3:4], off
	v_add_co_u32 v0, vcc_lo, v3, s2
	v_add_co_ci_u32_e32 v1, vcc_lo, s3, v4, vcc_lo
	v_add_co_u32 v3, vcc_lo, v0, s2
	v_add_co_ci_u32_e32 v4, vcc_lo, s3, v1, vcc_lo
	global_load_dword v12, v[0:1], off
	v_add_co_u32 v5, vcc_lo, v3, s2
	global_load_dword v3, v[3:4], off
	v_add_co_ci_u32_e32 v6, vcc_lo, s3, v4, vcc_lo
	v_add_co_u32 v0, vcc_lo, v5, s2
	v_add_co_ci_u32_e32 v1, vcc_lo, s3, v6, vcc_lo
	global_load_dword v46, v[24:25], off offset:656
	global_load_dword v4, v[5:6], off
	global_load_dword v5, v[0:1], off
	s_clause 0x1
	global_load_dword v45, v[24:25], off offset:1332
	global_load_dword v44, v[24:25], off offset:2008
	v_cmp_eq_u32_e32 vcc_lo, 1, v2
	s_load_dwordx4 s[8:11], s[10:11], 0x0
	v_cndmask_b32_e64 v2, 0, 0x49f, vcc_lo
	v_cmp_gt_u16_e32 vcc_lo, 0x4e, v8
	v_lshlrev_b32_e32 v52, 2, v2
	v_add_nc_u32_e32 v43, v52, v9
	s_waitcnt vmcnt(9)
	v_lshrrev_b32_e32 v6, 16, v7
	v_mul_f16_sdwa v2, v51, v7 dst_sel:DWORD dst_unused:UNUSED_PAD src0_sel:WORD_1 src1_sel:DWORD
	v_mul_f16_sdwa v13, v51, v6 dst_sel:DWORD dst_unused:UNUSED_PAD src0_sel:WORD_1 src1_sel:DWORD
	v_fma_f16 v2, v51, v6, -v2
	v_fmac_f16_e32 v13, v51, v7
	s_waitcnt vmcnt(8)
	v_lshrrev_b32_e32 v14, 16, v10
	v_mul_f16_sdwa v9, v50, v10 dst_sel:DWORD dst_unused:UNUSED_PAD src0_sel:WORD_1 src1_sel:DWORD
	v_pack_b32_f16 v13, v13, v2
	s_waitcnt vmcnt(7)
	v_lshrrev_b32_e32 v7, 16, v11
	v_mul_f16_sdwa v6, v50, v14 dst_sel:DWORD dst_unused:UNUSED_PAD src0_sel:WORD_1 src1_sel:DWORD
	v_fma_f16 v9, v50, v14, -v9
	v_mul_f16_sdwa v14, v48, v11 dst_sel:DWORD dst_unused:UNUSED_PAD src0_sel:WORD_1 src1_sel:DWORD
	v_mul_f16_sdwa v2, v48, v7 dst_sel:DWORD dst_unused:UNUSED_PAD src0_sel:WORD_1 src1_sel:DWORD
	v_fmac_f16_e32 v6, v50, v10
	v_fma_f16 v7, v48, v7, -v14
	s_waitcnt vmcnt(6)
	v_lshrrev_b32_e32 v10, 16, v12
	v_mul_f16_sdwa v14, v47, v12 dst_sel:DWORD dst_unused:UNUSED_PAD src0_sel:WORD_1 src1_sel:DWORD
	v_pack_b32_f16 v6, v6, v9
	v_fmac_f16_e32 v2, v48, v11
	s_waitcnt vmcnt(5)
	v_lshrrev_b32_e32 v11, 16, v3
	v_mul_f16_sdwa v9, v47, v10 dst_sel:DWORD dst_unused:UNUSED_PAD src0_sel:WORD_1 src1_sel:DWORD
	v_fma_f16 v10, v47, v10, -v14
	s_waitcnt vmcnt(4)
	v_mul_f16_sdwa v14, v46, v3 dst_sel:DWORD dst_unused:UNUSED_PAD src0_sel:WORD_1 src1_sel:DWORD
	v_pack_b32_f16 v7, v2, v7
	v_fmac_f16_e32 v9, v47, v12
	s_waitcnt vmcnt(3)
	v_lshrrev_b32_e32 v2, 16, v4
	s_waitcnt vmcnt(2)
	v_lshrrev_b32_e32 v15, 16, v5
	v_mul_f16_sdwa v12, v46, v11 dst_sel:DWORD dst_unused:UNUSED_PAD src0_sel:WORD_1 src1_sel:DWORD
	v_fma_f16 v11, v46, v11, -v14
	s_waitcnt vmcnt(1)
	v_mul_f16_sdwa v14, v45, v4 dst_sel:DWORD dst_unused:UNUSED_PAD src0_sel:WORD_1 src1_sel:DWORD
	v_pack_b32_f16 v9, v9, v10
	v_mul_f16_sdwa v10, v45, v2 dst_sel:DWORD dst_unused:UNUSED_PAD src0_sel:WORD_1 src1_sel:DWORD
	s_waitcnt vmcnt(0)
	v_mul_f16_sdwa v16, v44, v15 dst_sel:DWORD dst_unused:UNUSED_PAD src0_sel:WORD_1 src1_sel:DWORD
	v_mul_f16_sdwa v17, v44, v5 dst_sel:DWORD dst_unused:UNUSED_PAD src0_sel:WORD_1 src1_sel:DWORD
	v_fmac_f16_e32 v12, v46, v3
	v_fma_f16 v3, v45, v2, -v14
	v_fmac_f16_e32 v10, v45, v4
	v_fmac_f16_e32 v16, v44, v5
	v_fma_f16 v5, v44, v15, -v17
	v_add_nc_u32_e32 v2, 0x400, v43
	v_add_nc_u32_e32 v4, 0xa00, v43
	v_pack_b32_f16 v11, v12, v11
	v_pack_b32_f16 v3, v10, v3
	;; [unrolled: 1-line block ×3, first 2 shown]
	ds_write2_b32 v43, v13, v6 offset1:169
	ds_write2_b32 v2, v7, v9 offset0:82 offset1:251
	ds_write2_b32 v4, v11, v3 offset0:36 offset1:205
	ds_write_b32 v43, v5 offset:4056
	s_and_saveexec_b32 s12, vcc_lo
	s_cbranch_execz .LBB0_3
; %bb.2:
	v_mad_u64_u32 v[0:1], null, 0xfffff194, s0, v[0:1]
	s_mulk_i32 s1, 0xf194
	v_add_nc_u32_e32 v20, 0x100, v43
	s_sub_i32 s0, s1, s0
	v_add_nc_u32_e32 v1, s0, v1
	s_clause 0x2
	global_load_dword v3, v[26:27], off offset:364
	global_load_dword v9, v[26:27], off offset:1040
	;; [unrolled: 1-line block ×3, first 2 shown]
	global_load_dword v11, v[0:1], off
	v_add_co_u32 v0, s0, v0, s2
	v_add_co_ci_u32_e64 v1, s0, s3, v1, s0
	s_clause 0x1
	global_load_dword v12, v[24:25], off offset:344
	global_load_dword v13, v[24:25], off offset:1020
	v_add_co_u32 v5, s0, v0, s2
	v_add_co_ci_u32_e64 v6, s0, s3, v1, s0
	global_load_dword v14, v[0:1], off
	v_add_co_u32 v0, s0, v5, s2
	v_add_co_ci_u32_e64 v1, s0, s3, v6, s0
	global_load_dword v15, v[5:6], off
	;; [unrolled: 3-line block ×4, first 2 shown]
	v_add_co_u32 v5, s0, v0, s2
	v_add_co_ci_u32_e64 v6, s0, s3, v1, s0
	v_add_co_u32 v7, s0, 0x1000, v26
	v_add_co_ci_u32_e64 v8, s0, 0, v27, s0
	global_load_dword v0, v[0:1], off
	global_load_dword v1, v[5:6], off
	s_clause 0x1
	global_load_dword v5, v[24:25], off offset:1696
	global_load_dword v6, v[7:8], off offset:324
	s_waitcnt vmcnt(10)
	v_lshrrev_b32_e32 v7, 16, v11
	v_mul_f16_sdwa v8, v3, v11 dst_sel:DWORD dst_unused:UNUSED_PAD src0_sel:WORD_1 src1_sel:DWORD
	v_mul_f16_sdwa v18, v3, v7 dst_sel:DWORD dst_unused:UNUSED_PAD src0_sel:WORD_1 src1_sel:DWORD
	v_fma_f16 v7, v3, v7, -v8
	s_waitcnt vmcnt(7)
	v_lshrrev_b32_e32 v19, 16, v14
	v_mul_f16_sdwa v21, v9, v14 dst_sel:DWORD dst_unused:UNUSED_PAD src0_sel:WORD_1 src1_sel:DWORD
	v_fmac_f16_e32 v18, v3, v11
	v_mul_f16_sdwa v3, v9, v19 dst_sel:DWORD dst_unused:UNUSED_PAD src0_sel:WORD_1 src1_sel:DWORD
	s_waitcnt vmcnt(6)
	v_lshrrev_b32_e32 v8, 16, v15
	v_fma_f16 v11, v9, v19, -v21
	v_mul_f16_sdwa v19, v10, v15 dst_sel:DWORD dst_unused:UNUSED_PAD src0_sel:WORD_1 src1_sel:DWORD
	v_pack_b32_f16 v7, v18, v7
	v_fmac_f16_e32 v3, v9, v14
	v_mul_f16_sdwa v9, v10, v8 dst_sel:DWORD dst_unused:UNUSED_PAD src0_sel:WORD_1 src1_sel:DWORD
	s_waitcnt vmcnt(5)
	v_lshrrev_b32_e32 v14, 16, v16
	v_fma_f16 v8, v10, v8, -v19
	v_mul_f16_sdwa v18, v12, v16 dst_sel:DWORD dst_unused:UNUSED_PAD src0_sel:WORD_1 src1_sel:DWORD
	v_pack_b32_f16 v3, v3, v11
	v_fmac_f16_e32 v9, v10, v15
	v_mul_f16_sdwa v10, v12, v14 dst_sel:DWORD dst_unused:UNUSED_PAD src0_sel:WORD_1 src1_sel:DWORD
	s_waitcnt vmcnt(4)
	v_lshrrev_b32_e32 v11, 16, v17
	v_fma_f16 v14, v12, v14, -v18
	v_mul_f16_sdwa v15, v13, v17 dst_sel:DWORD dst_unused:UNUSED_PAD src0_sel:WORD_1 src1_sel:DWORD
	v_pack_b32_f16 v8, v9, v8
	v_fmac_f16_e32 v10, v12, v16
	s_waitcnt vmcnt(3)
	v_lshrrev_b32_e32 v12, 16, v0
	s_waitcnt vmcnt(2)
	v_lshrrev_b32_e32 v16, 16, v1
	v_mul_f16_sdwa v9, v13, v11 dst_sel:DWORD dst_unused:UNUSED_PAD src0_sel:WORD_1 src1_sel:DWORD
	v_fma_f16 v11, v13, v11, -v15
	s_waitcnt vmcnt(1)
	v_mul_f16_sdwa v15, v5, v0 dst_sel:DWORD dst_unused:UNUSED_PAD src0_sel:WORD_1 src1_sel:DWORD
	v_pack_b32_f16 v10, v10, v14
	v_mul_f16_sdwa v14, v5, v12 dst_sel:DWORD dst_unused:UNUSED_PAD src0_sel:WORD_1 src1_sel:DWORD
	s_waitcnt vmcnt(0)
	v_mul_f16_sdwa v18, v6, v16 dst_sel:DWORD dst_unused:UNUSED_PAD src0_sel:WORD_1 src1_sel:DWORD
	v_mul_f16_sdwa v19, v6, v1 dst_sel:DWORD dst_unused:UNUSED_PAD src0_sel:WORD_1 src1_sel:DWORD
	v_fmac_f16_e32 v9, v13, v17
	v_fma_f16 v12, v5, v12, -v15
	v_fmac_f16_e32 v14, v5, v0
	v_fmac_f16_e32 v18, v6, v1
	v_fma_f16 v0, v6, v16, -v19
	v_add_nc_u32_e32 v1, 0x600, v43
	v_pack_b32_f16 v5, v9, v11
	v_pack_b32_f16 v6, v14, v12
	v_add_nc_u32_e32 v9, 0xb00, v43
	v_pack_b32_f16 v0, v18, v0
	ds_write2_b32 v20, v7, v3 offset0:27 offset1:196
	ds_write2_b32 v1, v8, v10 offset0:45 offset1:214
	;; [unrolled: 1-line block ×3, first 2 shown]
	ds_write_b32 v43, v0 offset:4420
.LBB0_3:
	s_or_b32 exec_lo, exec_lo, s12
	s_waitcnt lgkmcnt(0)
	s_barrier
	buffer_gl0_inv
	ds_read2_b32 v[0:1], v43 offset1:169
	ds_read2_b32 v[2:3], v2 offset0:82 offset1:251
	ds_read2_b32 v[4:5], v4 offset0:36 offset1:205
	ds_read_b32 v14, v43 offset:4056
	s_load_dwordx2 s[0:1], s[4:5], 0x8
	v_mov_b32_e32 v7, 0
	v_mov_b32_e32 v8, 0
	;; [unrolled: 1-line block ×4, first 2 shown]
                                        ; implicit-def: $vgpr12
                                        ; implicit-def: $vgpr13
                                        ; implicit-def: $vgpr15
	s_and_saveexec_b32 s2, vcc_lo
	s_cbranch_execz .LBB0_5
; %bb.4:
	v_add_nc_u32_e32 v6, 0x600, v43
	v_add_nc_u32_e32 v7, 0xb00, v43
	;; [unrolled: 1-line block ×3, first 2 shown]
	ds_read_b32 v13, v43 offset:4420
	ds_read2_b32 v[8:9], v6 offset0:45 offset1:214
	ds_read2_b32 v[10:11], v7 offset0:63 offset1:232
	;; [unrolled: 1-line block ×3, first 2 shown]
	s_waitcnt lgkmcnt(0)
	v_lshrrev_b32_e32 v12, 16, v13
	v_bfi_b32 v13, 0xffff, v13, v9
	v_bfi_b32 v15, 0xffff, v9, v11
.LBB0_5:
	s_or_b32 exec_lo, exec_lo, s2
	v_bfi_b32 v16, 0xffff, v7, v10
	v_bfi_b32 v17, 0xffff, v10, v8
	v_add_f16_sdwa v18, v12, v7 dst_sel:DWORD dst_unused:UNUSED_PAD src0_sel:DWORD src1_sel:WORD_1
	v_add_f16_e32 v19, v11, v8
	v_alignbit_b32 v21, v10, v7, 16
	v_pk_add_f16 v9, v16, v13 neg_lo:[0,1] neg_hi:[0,1]
	v_pk_add_f16 v20, v15, v17
	v_pk_add_f16 v16, v13, v16
	v_perm_b32 v12, v15, v12, 0x5040100
	v_alignbit_b32 v22, v8, v10, 16
	v_alignbit_b32 v13, v11, v13, 16
	v_pk_add_f16 v8, v17, v15 neg_lo:[0,1] neg_hi:[0,1]
	v_pack_b32_f16 v7, v16, v18
	v_bfi_b32 v10, 0xffff, v19, v20
	v_pk_add_f16 v11, v21, v12 neg_lo:[0,1] neg_hi:[0,1]
	v_pk_add_f16 v12, v22, v13 neg_lo:[0,1] neg_hi:[0,1]
	v_pack_b32_f16 v13, v20, v18
	v_bfi_b32 v15, 0xffff, v19, v16
	v_pk_add_f16 v17, v7, v10
	v_bfi_b32 v18, 0xffff, v20, v16
	v_perm_b32 v21, v11, v8, 0x7060302
	v_pack_b32_f16 v22, v12, v9
	v_pk_add_f16 v13, v13, v15 neg_lo:[0,1] neg_hi:[0,1]
	v_pk_add_f16 v19, v16, v20 neg_lo:[0,1] neg_hi:[0,1]
	v_pk_add_f16 v20, v17, v18
	v_pk_add_f16 v16, v21, v12
	v_pk_add_f16 v17, v22, v21 neg_lo:[0,1] neg_hi:[0,1]
	v_pk_add_f16 v18, v11, v12 neg_lo:[0,1] neg_hi:[0,1]
	v_pack_b32_f16 v21, v11, v9
	v_pk_add_f16 v6, v20, v6
	v_pk_mul_f16 v15, 0x3a522b26, v13
	v_pk_mul_f16 v17, 0x3574b846, v17
	s_waitcnt lgkmcnt(0)
	v_pk_add_f16 v23, v1, v14
	v_pk_add_f16 v16, v21, v16
	v_pk_fma_f16 v13, 0x3cab, v20, v6 op_sel_hi:[0,1,1] neg_lo:[0,1,0] neg_hi:[0,1,0]
	v_pk_fma_f16 v20, 0x2b263a52, v19, v15
	v_pk_fma_f16 v21, 0xb8463574, v18, v17
	v_pk_add_f16 v29, v1, v14 neg_lo:[0,1] neg_hi:[0,1]
	v_add_co_u32 v22, null, 0x5b, v49
	v_pk_add_f16 v20, v20, v13
	v_pk_fma_f16 v21, 0x370e, v16, v21 op_sel_hi:[0,1,1]
	v_mul_u32_u24_e32 v53, 7, v22
	s_barrier
	buffer_gl0_inv
	v_pk_add_f16 v1, v20, v21
	v_pk_add_f16 v14, v20, v21 neg_lo:[0,1] neg_hi:[0,1]
	v_pk_add_f16 v20, v2, v5
	v_pk_add_f16 v2, v2, v5 neg_lo:[0,1] neg_hi:[0,1]
	;; [unrolled: 2-line block ×3, first 2 shown]
	v_mul_lo_u16 v4, v49, 7
	v_pk_add_f16 v21, v20, v23
	v_pk_add_f16 v30, v20, v23 neg_lo:[0,1] neg_hi:[0,1]
	v_pk_add_f16 v34, v2, v29 op_sel:[1,1] op_sel_hi:[0,0] neg_lo:[0,1] neg_hi:[0,1]
	v_pk_add_f16 v31, v3, v2 op_sel:[1,1] op_sel_hi:[0,0]
	v_pk_add_f16 v23, v23, v5 neg_lo:[0,1] neg_hi:[0,1]
	v_pk_add_f16 v21, v5, v21
	v_pk_add_f16 v33, v29, v3 op_sel:[1,1] op_sel_hi:[0,0] neg_lo:[0,1] neg_hi:[0,1]
	v_pk_mul_f16 v34, 0x3b00, v34 op_sel_hi:[0,1]
	v_pk_add_f16 v29, v31, v29 op_sel:[0,1] op_sel_hi:[1,0]
	v_pk_mul_f16 v31, 0x39e0, v30 op_sel_hi:[0,1]
	v_pk_add_f16 v0, v21, v0
	v_pk_add_f16 v5, v5, v20 neg_lo:[0,1] neg_hi:[0,1]
	v_pk_add_f16 v2, v3, v2 op_sel:[1,1] op_sel_hi:[0,0] neg_lo:[0,1] neg_hi:[0,1]
	v_pk_mul_f16 v23, 0x3a52, v23 op_sel_hi:[0,1]
	v_pk_mul_f16 v20, 0x3574, v33 op_sel_hi:[0,1]
	v_pk_fma_f16 v21, 0x3cab, v21, v0 op_sel_hi:[0,1,1] neg_lo:[0,1,0] neg_hi:[0,1,0]
	v_pk_fma_f16 v3, 0x3574, v33, v34 op_sel_hi:[0,1,1] neg_lo:[0,1,1] neg_hi:[0,1,1]
	;; [unrolled: 1-line block ×5, first 2 shown]
	v_pk_fma_f16 v5, 0x2b26, v5, v23 op_sel_hi:[0,1,1]
	v_pk_fma_f16 v2, 0xb846, v2, v20 op_sel_hi:[0,1,1]
	v_pk_add_f16 v20, v31, v21
	v_pk_fma_f16 v23, 0x370e, v29, v33 op_sel_hi:[0,1,1]
	v_and_b32_e32 v4, 0xffff, v4
	v_pk_add_f16 v30, v30, v21
	v_pk_fma_f16 v3, 0x370e, v29, v3 op_sel_hi:[0,1,1]
	v_pk_add_f16 v5, v5, v21
	v_pk_fma_f16 v2, 0x370e, v29, v2 op_sel_hi:[0,1,1]
	v_pk_add_f16 v21, v20, v23 neg_lo:[0,1] neg_hi:[0,1]
	v_pk_add_f16 v20, v20, v23
	v_pk_add_f16 v31, v30, v3
	v_pk_add_f16 v3, v30, v3 neg_lo:[0,1] neg_hi:[0,1]
	v_lshl_add_u32 v54, v4, 2, v52
	v_pk_add_f16 v4, v5, v2
	v_pk_add_f16 v2, v5, v2 neg_lo:[0,1] neg_hi:[0,1]
	v_bfi_b32 v32, 0xffff, v14, v1
	v_bfi_b32 v23, 0xffff, v21, v20
	;; [unrolled: 1-line block ×7, first 2 shown]
	ds_write_b32 v54, v0
	ds_write2_b32 v54, v23, v20 offset0:3 offset1:4
	ds_write2_b32 v54, v21, v5 offset0:1 offset1:2
	;; [unrolled: 1-line block ×3, first 2 shown]
	s_and_saveexec_b32 s2, vcc_lo
	s_cbranch_execz .LBB0_7
; %bb.6:
	v_pk_mul_f16 v0, 0x2b263a52, v19
	v_perm_b32 v2, v12, v8, 0x7060302
	v_perm_b32 v3, v9, v11, 0x5040100
	v_pk_mul_f16 v4, 0xb8463574, v18
	v_pk_add_f16 v5, v10, v7 neg_lo:[0,1] neg_hi:[0,1]
	v_bfi_b32 v7, 0xffff, v0, v15
	v_bfi_b32 v0, 0xffff, v15, v0
	v_pk_add_f16 v2, v2, v3 neg_lo:[0,1] neg_hi:[0,1]
	v_bfi_b32 v3, 0xffff, v4, v17
	v_bfi_b32 v4, 0xffff, v17, v4
	v_pk_mul_f16 v8, 0x370e, v16 op_sel_hi:[0,1]
	v_pk_fma_f16 v7, 0x39e0, v5, v7 op_sel_hi:[0,1,1] neg_lo:[0,1,1] neg_hi:[0,1,1]
	v_pk_fma_f16 v0, 0x39e0, v5, v0 op_sel_hi:[0,1,1] neg_lo:[0,0,1] neg_hi:[0,0,1]
	;; [unrolled: 1-line block ×4, first 2 shown]
	v_bfi_b32 v1, 0xffff, v1, v14
	v_pk_add_f16 v4, v7, v13
	v_pk_add_f16 v0, v0, v13
	;; [unrolled: 1-line block ×5, first 2 shown]
	v_pk_add_f16 v3, v4, v3 neg_lo:[0,1] neg_hi:[0,1]
	v_pk_add_f16 v4, v0, v2 neg_lo:[0,1] neg_hi:[0,1]
	v_pk_add_f16 v0, v0, v2
	v_lshl_add_u32 v2, v53, 2, v52
	v_bfi_b32 v7, 0xffff, v5, v3
	v_bfi_b32 v3, 0xffff, v3, v5
	;; [unrolled: 1-line block ×4, first 2 shown]
	ds_write2_b32 v2, v6, v1 offset1:1
	ds_write2_b32 v2, v7, v8 offset0:2 offset1:3
	ds_write2_b32 v2, v0, v3 offset0:4 offset1:5
	ds_write_b32 v2, v32 offset:24
.LBB0_7:
	s_or_b32 exec_lo, exec_lo, s2
	v_and_b32_e32 v0, 0xff, v49
	s_waitcnt lgkmcnt(0)
	s_barrier
	buffer_gl0_inv
	v_add_nc_u32_e32 v37, 0x200, v43
	v_mul_lo_u16 v0, v0, 37
	v_add_nc_u32_e32 v39, 0x400, v43
	v_add_nc_u32_e32 v38, 0x800, v43
	v_add_nc_u32_e32 v41, 0xa00, v43
	v_add_nc_u32_e32 v40, 0xc00, v43
	v_lshrrev_b16 v0, 8, v0
	v_sub_nc_u16 v1, v49, v0
	v_lshrrev_b16 v1, 1, v1
	v_and_b32_e32 v1, 0x7f, v1
	v_add_nc_u16 v0, v1, v0
	v_mov_b32_e32 v1, 12
	v_lshrrev_b16 v15, 2, v0
	v_mul_lo_u16 v0, v15, 7
	v_sub_nc_u16 v14, v49, v0
	v_mul_u32_u24_sdwa v0, v14, v1 dst_sel:DWORD dst_unused:UNUSED_PAD src0_sel:BYTE_0 src1_sel:DWORD
	v_lshlrev_b32_e32 v4, 2, v0
	s_clause 0x2
	global_load_dwordx4 v[8:11], v4, s[0:1]
	global_load_dwordx4 v[0:3], v4, s[0:1] offset:32
	global_load_dwordx4 v[4:7], v4, s[0:1] offset:16
	ds_read2_b32 v[12:13], v43 offset1:91
	ds_read_b32 v23, v43 offset:4368
	ds_read2_b32 v[20:21], v37 offset0:54 offset1:145
	ds_read2_b32 v[33:34], v39 offset0:108 offset1:199
	;; [unrolled: 1-line block ×5, first 2 shown]
	s_waitcnt vmcnt(0) lgkmcnt(0)
	s_barrier
	buffer_gl0_inv
	v_lshrrev_b32_e32 v29, 16, v13
	v_lshrrev_b32_e32 v42, 16, v23
	;; [unrolled: 1-line block ×12, first 2 shown]
	v_mul_f16_sdwa v55, v29, v8 dst_sel:DWORD dst_unused:UNUSED_PAD src0_sel:DWORD src1_sel:WORD_1
	v_mul_f16_sdwa v76, v13, v8 dst_sel:DWORD dst_unused:UNUSED_PAD src0_sel:DWORD src1_sel:WORD_1
	;; [unrolled: 1-line block ×7, first 2 shown]
	v_fma_f16 v86, v13, v8, -v55
	v_fmac_f16_e32 v76, v29, v8
	v_mul_f16_sdwa v16, v23, v3 dst_sel:DWORD dst_unused:UNUSED_PAD src0_sel:DWORD src1_sel:WORD_1
	v_mul_f16_sdwa v57, v42, v3 dst_sel:DWORD dst_unused:UNUSED_PAD src0_sel:DWORD src1_sel:WORD_1
	v_mul_f16_sdwa v77, v67, v10 dst_sel:DWORD dst_unused:UNUSED_PAD src0_sel:DWORD src1_sel:WORD_1
	v_mul_f16_sdwa v31, v58, v5 dst_sel:DWORD dst_unused:UNUSED_PAD src0_sel:DWORD src1_sel:WORD_1
	v_mul_f16_sdwa v82, v72, v7 dst_sel:DWORD dst_unused:UNUSED_PAD src0_sel:DWORD src1_sel:WORD_1
	v_mul_f16_sdwa v83, v73, v0 dst_sel:DWORD dst_unused:UNUSED_PAD src0_sel:DWORD src1_sel:WORD_1
	v_mul_f16_sdwa v22, v60, v7 dst_sel:DWORD dst_unused:UNUSED_PAD src0_sel:DWORD src1_sel:WORD_1
	v_mul_f16_sdwa v84, v74, v1 dst_sel:DWORD dst_unused:UNUSED_PAD src0_sel:DWORD src1_sel:WORD_1
	v_mul_f16_sdwa v18, v64, v1 dst_sel:DWORD dst_unused:UNUSED_PAD src0_sel:DWORD src1_sel:WORD_1
	v_fma_f16 v63, v20, v9, -v63
	v_fma_f16 v20, v65, v2, -v85
	v_fmac_f16_e32 v62, v66, v9
	v_fmac_f16_e32 v56, v67, v10
	;; [unrolled: 1-line block ×3, first 2 shown]
	v_add_f16_e32 v66, v86, v12
	v_add_f16_sdwa v67, v76, v12 dst_sel:DWORD dst_unused:UNUSED_PAD src0_sel:DWORD src1_sel:WORD_1
	v_mul_f16_sdwa v78, v68, v11 dst_sel:DWORD dst_unused:UNUSED_PAD src0_sel:DWORD src1_sel:WORD_1
	v_mul_f16_sdwa v79, v69, v4 dst_sel:DWORD dst_unused:UNUSED_PAD src0_sel:DWORD src1_sel:WORD_1
	;; [unrolled: 1-line block ×6, first 2 shown]
	v_fmac_f16_e32 v16, v42, v3
	v_fma_f16 v13, v23, v3, -v57
	v_fma_f16 v57, v21, v10, -v77
	;; [unrolled: 1-line block ×5, first 2 shown]
	v_fmac_f16_e32 v31, v70, v5
	v_fmac_f16_e32 v22, v72, v7
	;; [unrolled: 1-line block ×3, first 2 shown]
	v_sub_f16_e32 v70, v62, v17
	v_add_f16_e32 v60, v63, v20
	v_sub_f16_e32 v72, v63, v20
	v_add_f16_e32 v61, v62, v17
	v_add_f16_e32 v63, v66, v63
	;; [unrolled: 1-line block ×3, first 2 shown]
	v_mul_f16_sdwa v30, v59, v6 dst_sel:DWORD dst_unused:UNUSED_PAD src0_sel:DWORD src1_sel:WORD_1
	v_fma_f16 v55, v33, v11, -v78
	v_fma_f16 v42, v34, v4, -v79
	;; [unrolled: 1-line block ×3, first 2 shown]
	v_fmac_f16_e32 v36, v68, v11
	v_fmac_f16_e32 v35, v69, v4
	;; [unrolled: 1-line block ×3, first 2 shown]
	v_sub_f16_e32 v69, v76, v16
	v_add_f16_e32 v58, v76, v16
	v_sub_f16_e32 v74, v56, v18
	v_add_f16_e32 v64, v57, v21
	;; [unrolled: 2-line block ×3, first 2 shown]
	v_add_f16_e32 v57, v63, v57
	v_add_f16_e32 v56, v62, v56
	v_mul_f16_sdwa v81, v71, v6 dst_sel:DWORD dst_unused:UNUSED_PAD src0_sel:DWORD src1_sel:WORD_1
	v_fmac_f16_e32 v30, v71, v6
	v_sub_f16_e32 v68, v86, v13
	v_sub_f16_e32 v77, v36, v19
	v_add_f16_e32 v71, v55, v23
	v_sub_f16_e32 v78, v55, v23
	v_add_f16_e32 v73, v36, v19
	v_add_f16_e32 v55, v57, v55
	;; [unrolled: 1-line block ×3, first 2 shown]
	v_fma_f16 v33, v59, v6, -v81
	v_add_f16_e32 v59, v86, v13
	v_sub_f16_e32 v79, v35, v22
	v_add_f16_e32 v75, v42, v29
	v_sub_f16_e32 v80, v42, v29
	v_add_f16_e32 v81, v35, v22
	v_mul_f16_e32 v86, 0xb770, v69
	v_mul_f16_e32 v87, 0xb770, v68
	v_add_f16_e32 v42, v55, v42
	v_add_f16_e32 v35, v36, v35
	;; [unrolled: 1-line block ×3, first 2 shown]
	v_sub_f16_e32 v83, v31, v30
	v_sub_f16_e32 v84, v34, v33
	v_add_f16_e32 v85, v31, v30
	v_mul_f16_e32 v88, 0xba95, v69
	v_mul_f16_e32 v89, 0xba95, v68
	;; [unrolled: 1-line block ×17, first 2 shown]
	v_fma_f16 v137, v59, 0x3b15, -v86
	v_fmamk_f16 v138, v58, 0x3b15, v87
	v_fmac_f16_e32 v86, 0x3b15, v59
	v_add_f16_e32 v34, v42, v34
	v_add_f16_e32 v31, v35, v31
	v_mul_f16_e32 v67, 0xbb7b, v72
	v_mul_f16_e32 v101, 0xb3a8, v72
	;; [unrolled: 1-line block ×7, first 2 shown]
	v_fma_f16 v87, v58, 0x3b15, -v87
	v_fma_f16 v139, v59, 0x388b, -v88
	v_fmamk_f16 v140, v58, 0x388b, v89
	v_fmac_f16_e32 v88, 0x388b, v59
	v_fma_f16 v89, v58, 0x388b, -v89
	v_fma_f16 v141, v59, 0x2fb7, -v90
	v_fmamk_f16 v142, v58, 0x2fb7, v91
	v_fmac_f16_e32 v90, 0x2fb7, v59
	;; [unrolled: 4-line block ×4, first 2 shown]
	v_fma_f16 v95, v58, 0xb9fd, -v95
	v_fma_f16 v147, v59, 0xbbc4, -v69
	v_fmac_f16_e32 v69, 0xbbc4, v59
	v_fmamk_f16 v59, v58, 0xbbc4, v68
	v_fma_f16 v58, v58, 0xbbc4, -v68
	v_fma_f16 v68, v60, 0x388b, -v96
	v_fmac_f16_e32 v96, 0x388b, v60
	v_fma_f16 v148, v60, 0xb5ac, -v97
	v_fmac_f16_e32 v97, 0xb5ac, v60
	;; [unrolled: 2-line block ×6, first 2 shown]
	v_fmamk_f16 v60, v61, 0x388b, v66
	v_add_f16_e32 v137, v137, v12
	v_add_f16_sdwa v138, v138, v12 dst_sel:DWORD dst_unused:UNUSED_PAD src0_sel:DWORD src1_sel:WORD_1
	v_add_f16_e32 v86, v86, v12
	v_add_f16_e32 v33, v34, v33
	;; [unrolled: 1-line block ×3, first 2 shown]
	v_mul_f16_e32 v105, 0xb3a8, v74
	v_mul_f16_e32 v106, 0x3b7b, v74
	;; [unrolled: 1-line block ×17, first 2 shown]
	v_fma_f16 v66, v61, 0x388b, -v66
	v_fmamk_f16 v153, v61, 0xb5ac, v67
	v_fma_f16 v67, v61, 0xb5ac, -v67
	v_fmamk_f16 v154, v61, 0xbbc4, v101
	;; [unrolled: 2-line block ×5, first 2 shown]
	v_fma_f16 v61, v61, 0x3b15, -v72
	v_fma_f16 v72, v64, 0x2fb7, -v104
	v_fmac_f16_e32 v104, 0x2fb7, v64
	v_fmamk_f16 v62, v65, 0x2fb7, v109
	v_add_f16_sdwa v87, v87, v12 dst_sel:DWORD dst_unused:UNUSED_PAD src0_sel:DWORD src1_sel:WORD_1
	v_add_f16_e32 v139, v139, v12
	v_add_f16_sdwa v140, v140, v12 dst_sel:DWORD dst_unused:UNUSED_PAD src0_sel:DWORD src1_sel:WORD_1
	v_add_f16_e32 v88, v88, v12
	;; [unrolled: 2-line block ×11, first 2 shown]
	v_add_f16_e32 v55, v60, v138
	v_add_f16_e32 v58, v96, v86
	;; [unrolled: 1-line block ×4, first 2 shown]
	v_mul_f16_e32 v120, 0x394e, v78
	v_mul_f16_e32 v121, 0x3770, v78
	;; [unrolled: 1-line block ×12, first 2 shown]
	v_fma_f16 v158, v64, 0xbbc4, -v105
	v_fmac_f16_e32 v105, 0xbbc4, v64
	v_fma_f16 v159, v64, 0xb5ac, -v106
	v_fmac_f16_e32 v106, 0xb5ac, v64
	;; [unrolled: 2-line block ×5, first 2 shown]
	v_fma_f16 v63, v65, 0x2fb7, -v109
	v_fmamk_f16 v64, v65, 0xbbc4, v110
	v_fma_f16 v109, v65, 0xbbc4, -v110
	v_fmamk_f16 v110, v65, 0xb5ac, v111
	;; [unrolled: 2-line block ×5, first 2 shown]
	v_fma_f16 v65, v65, 0xb9fd, -v76
	v_fma_f16 v76, v71, 0xb5ac, -v114
	v_fmac_f16_e32 v114, 0xb5ac, v71
	v_fma_f16 v166, v71, 0xb9fd, -v115
	v_fmac_f16_e32 v115, 0xb9fd, v71
	;; [unrolled: 2-line block ×6, first 2 shown]
	v_fmamk_f16 v71, v73, 0xb5ac, v119
	v_add_f16_e32 v60, v148, v139
	v_add_f16_e32 v36, v72, v36
	;; [unrolled: 1-line block ×6, first 2 shown]
	v_mul_f16_e32 v130, 0x3bf1, v80
	v_mul_f16_e32 v131, 0xba95, v80
	v_mul_f16_e32 v132, 0x33a8, v80
	v_mul_f16_e32 v133, 0x3770, v80
	v_mul_f16_e32 v80, 0xbb7b, v80
	v_mul_f16_e32 v134, 0xb3a8, v83
	v_mul_f16_e32 v135, 0xb3a8, v84
	v_fma_f16 v119, v73, 0xb5ac, -v119
	v_fmamk_f16 v171, v73, 0xb9fd, v120
	v_fma_f16 v120, v73, 0xb9fd, -v120
	v_fmamk_f16 v172, v73, 0x3b15, v121
	;; [unrolled: 2-line block ×5, first 2 shown]
	v_fma_f16 v73, v73, 0x388b, -v78
	v_fma_f16 v78, v75, 0xb9fd, -v124
	v_fmac_f16_e32 v124, 0xb9fd, v75
	v_fma_f16 v176, v75, 0x2fb7, -v125
	v_fmac_f16_e32 v125, 0x2fb7, v75
	;; [unrolled: 2-line block ×6, first 2 shown]
	v_fmamk_f16 v75, v81, 0xb9fd, v129
	v_add_f16_e32 v59, v66, v87
	v_add_f16_e32 v66, v153, v140
	;; [unrolled: 1-line block ×11, first 2 shown]
	v_mul_f16_e32 v136, 0x3770, v83
	v_fma_f16 v129, v81, 0xb9fd, -v129
	v_fmamk_f16 v181, v81, 0x2fb7, v130
	v_fma_f16 v130, v81, 0x2fb7, -v130
	v_fmamk_f16 v182, v81, 0x388b, v131
	;; [unrolled: 2-line block ×5, first 2 shown]
	v_fma_f16 v80, v81, 0xb5ac, -v80
	v_fma_f16 v81, v82, 0xbbc4, -v134
	v_fmamk_f16 v186, v85, 0xbbc4, v135
	v_fmac_f16_e32 v134, 0xbbc4, v82
	v_add_f16_e32 v68, v97, v88
	v_add_f16_e32 v69, v149, v141
	;; [unrolled: 1-line block ×29, first 2 shown]
	v_add_f16_sdwa v16, v17, v16 dst_sel:WORD_1 dst_unused:UNUSED_PAD src0_sel:DWORD src1_sel:DWORD
	v_add_f16_e32 v17, v186, v31
	v_mul_f16_e32 v20, 0x3770, v84
	v_add_f16_e32 v31, v134, v33
	v_fma_f16 v33, v82, 0x3b15, -v136
	v_add_f16_e32 v90, v155, v144
	v_add_f16_e32 v92, v102, v93
	;; [unrolled: 1-line block ×15, first 2 shown]
	v_fma_f16 v30, v85, 0xbbc4, -v135
	v_or_b32_sdwa v13, v16, v13 dst_sel:DWORD dst_unused:UNUSED_PAD src0_sel:DWORD src1_sel:WORD_0
	v_fmamk_f16 v16, v85, 0x3b15, v20
	v_mul_f16_e32 v42, 0xb94e, v83
	v_add_f16_e32 v33, v33, v36
	v_fma_f16 v20, v85, 0x3b15, -v20
	v_mul_f16_e32 v36, 0xb94e, v84
	v_add_f16_e32 v95, v103, v95
	v_add_f16_e32 v70, v163, v90
	v_add_f16_e32 v86, v112, v92
	v_add_f16_e32 v87, v161, v93
	v_add_f16_e32 v62, v116, v67
	v_add_f16_e32 v64, v168, v69
	v_add_f16_e32 v66, v117, v72
	v_add_f16_e32 v56, v125, v58
	v_add_f16_e32 v58, v177, v60
	v_add_f16_e32 v59, v182, v61
	v_add_f16_e32 v61, v131, v63
	v_add_f16_e32 v30, v30, v34
	v_fma_f16 v34, v82, 0xb9fd, -v42
	v_add_f16_e32 v16, v16, v55
	v_add_f16_e32 v20, v20, v57
	v_fmamk_f16 v55, v85, 0xb9fd, v36
	v_mul_f16_e32 v57, 0x3a95, v83
	v_fma_f16 v36, v85, 0xb9fd, -v36
	v_add_f16_e32 v96, v156, v146
	v_add_f16_e32 v97, v152, v147
	;; [unrolled: 1-line block ×11, first 2 shown]
	v_fmac_f16_e32 v42, 0xb9fd, v82
	v_mul_f16_e32 v58, 0x3a95, v84
	v_add_f16_e32 v59, v55, v59
	v_fma_f16 v55, v82, 0x388b, -v57
	v_add_f16_e32 v36, v36, v61
	v_mul_f16_e32 v61, 0xbb7b, v83
	v_fmac_f16_e32 v57, 0x388b, v82
	v_add_f16_e32 v88, v164, v96
	v_add_f16_e32 v94, v100, v94
	;; [unrolled: 1-line block ×8, first 2 shown]
	v_fmamk_f16 v60, v85, 0x388b, v58
	v_mul_f16_e32 v67, 0xbb7b, v84
	v_add_f16_e32 v62, v55, v62
	v_fma_f16 v55, v85, 0x388b, -v58
	v_fma_f16 v58, v82, 0xb5ac, -v61
	v_add_f16_e32 v57, v57, v64
	v_mov_b32_e32 v64, 0x5b
	v_add_f16_e32 v69, v174, v88
	v_add_f16_e32 v89, v108, v94
	;; [unrolled: 1-line block ×7, first 2 shown]
	v_fma_f16 v55, v85, 0xb5ac, -v67
	v_mul_f16_e32 v58, 0x3bf1, v83
	v_mul_u32_u24_sdwa v15, v15, v64 dst_sel:DWORD dst_unused:UNUSED_PAD src0_sel:WORD_0 src1_sel:DWORD
	v_add_f16_e32 v29, v184, v69
	v_fmamk_f16 v68, v85, 0xb5ac, v67
	v_add_f16_e32 v35, v175, v35
	v_add_f16_e32 v12, v73, v12
	v_mul_f16_e32 v65, 0x3bf1, v84
	v_add_f16_e32 v70, v118, v89
	v_add_f16_e32 v23, v180, v72
	v_add_f16_e32 v19, v55, v19
	v_fma_f16 v55, v82, 0x2fb7, -v58
	v_add_nc_u32_sdwa v14, v15, v14 dst_sel:DWORD dst_unused:UNUSED_PAD src0_sel:DWORD src1_sel:BYTE_0
	v_add_f16_e32 v29, v68, v29
	v_add_f16_e32 v35, v185, v35
	;; [unrolled: 1-line block ×3, first 2 shown]
	v_fmamk_f16 v64, v85, 0x2fb7, v65
	v_fmac_f16_e32 v58, 0x2fb7, v82
	v_fma_f16 v65, v85, 0x2fb7, -v65
	v_add_f16_e32 v66, v128, v70
	v_fmac_f16_e32 v61, 0xb5ac, v82
	v_fmac_f16_e32 v136, 0x3b15, v82
	v_add_f16_e32 v23, v55, v23
	v_lshl_add_u32 v55, v14, 2, v52
	v_pack_b32_f16 v14, v21, v17
	v_pack_b32_f16 v16, v33, v16
	;; [unrolled: 1-line block ×5, first 2 shown]
	v_add_f16_e32 v15, v64, v35
	v_add_f16_e32 v18, v58, v18
	;; [unrolled: 1-line block ×5, first 2 shown]
	ds_write2_b32 v55, v13, v14 offset1:7
	ds_write2_b32 v55, v16, v17 offset0:14 offset1:21
	ds_write2_b32 v55, v21, v22 offset0:28 offset1:35
	v_mad_u64_u32 v[16:17], null, v49, 48, s[0:1]
	v_pack_b32_f16 v13, v23, v15
	v_pack_b32_f16 v12, v18, v12
	;; [unrolled: 1-line block ×7, first 2 shown]
	ds_write2_b32 v55, v13, v12 offset0:42 offset1:49
	ds_write2_b32 v55, v14, v15 offset0:56 offset1:63
	;; [unrolled: 1-line block ×3, first 2 shown]
	ds_write_b32 v55, v20 offset:336
	s_waitcnt lgkmcnt(0)
	s_barrier
	buffer_gl0_inv
	s_clause 0x2
	global_load_dwordx4 v[20:23], v[16:17], off offset:336
	global_load_dwordx4 v[12:15], v[16:17], off offset:368
	;; [unrolled: 1-line block ×3, first 2 shown]
	ds_read2_b32 v[29:30], v43 offset1:91
	ds_read_b32 v57, v43 offset:4368
	ds_read2_b32 v[34:35], v37 offset0:54 offset1:145
	ds_read2_b32 v[60:61], v39 offset0:108 offset1:199
	;; [unrolled: 1-line block ×5, first 2 shown]
	s_waitcnt lgkmcnt(6)
	v_lshrrev_b32_e32 v64, 16, v30
	s_waitcnt lgkmcnt(5)
	v_lshrrev_b32_e32 v65, 16, v57
	;; [unrolled: 2-line block ×3, first 2 shown]
	v_lshrrev_b32_e32 v75, 16, v35
	s_waitcnt lgkmcnt(3)
	v_lshrrev_b32_e32 v77, 16, v60
	s_waitcnt lgkmcnt(1)
	;; [unrolled: 2-line block ×3, first 2 shown]
	v_lshrrev_b32_e32 v86, 16, v73
	v_lshrrev_b32_e32 v85, 16, v72
	;; [unrolled: 1-line block ×6, first 2 shown]
	s_waitcnt vmcnt(2)
	v_mul_f16_sdwa v67, v64, v20 dst_sel:DWORD dst_unused:UNUSED_PAD src0_sel:DWORD src1_sel:WORD_1
	v_mul_f16_sdwa v87, v30, v20 dst_sel:DWORD dst_unused:UNUSED_PAD src0_sel:DWORD src1_sel:WORD_1
	s_waitcnt vmcnt(1)
	v_mul_f16_sdwa v66, v57, v15 dst_sel:DWORD dst_unused:UNUSED_PAD src0_sel:DWORD src1_sel:WORD_1
	v_mul_f16_sdwa v81, v74, v21 dst_sel:DWORD dst_unused:UNUSED_PAD src0_sel:DWORD src1_sel:WORD_1
	;; [unrolled: 1-line block ×7, first 2 shown]
	v_fma_f16 v97, v30, v20, -v67
	v_fmac_f16_e32 v87, v64, v20
	v_mul_f16_sdwa v76, v65, v15 dst_sel:DWORD dst_unused:UNUSED_PAD src0_sel:DWORD src1_sel:WORD_1
	v_mul_f16_sdwa v88, v75, v22 dst_sel:DWORD dst_unused:UNUSED_PAD src0_sel:DWORD src1_sel:WORD_1
	;; [unrolled: 1-line block ×4, first 2 shown]
	s_waitcnt vmcnt(0)
	v_mul_f16_sdwa v58, v61, v16 dst_sel:DWORD dst_unused:UNUSED_PAD src0_sel:DWORD src1_sel:WORD_1
	v_mul_f16_sdwa v56, v69, v18 dst_sel:DWORD dst_unused:UNUSED_PAD src0_sel:DWORD src1_sel:WORD_1
	;; [unrolled: 1-line block ×4, first 2 shown]
	v_fmac_f16_e32 v66, v65, v15
	v_fma_f16 v81, v34, v21, -v81
	v_fma_f16 v34, v73, v14, -v96
	v_fmac_f16_e32 v79, v74, v21
	v_fmac_f16_e32 v33, v86, v14
	;; [unrolled: 1-line block ×4, first 2 shown]
	v_add_f16_e32 v84, v97, v29
	v_add_f16_sdwa v85, v87, v29 dst_sel:DWORD dst_unused:UNUSED_PAD src0_sel:DWORD src1_sel:WORD_1
	v_mul_f16_sdwa v89, v77, v23 dst_sel:DWORD dst_unused:UNUSED_PAD src0_sel:DWORD src1_sel:WORD_1
	v_mul_f16_sdwa v90, v78, v16 dst_sel:DWORD dst_unused:UNUSED_PAD src0_sel:DWORD src1_sel:WORD_1
	;; [unrolled: 1-line block ×4, first 2 shown]
	v_fma_f16 v67, v57, v15, -v76
	v_fma_f16 v76, v35, v22, -v88
	;; [unrolled: 1-line block ×3, first 2 shown]
	v_fmac_f16_e32 v36, v75, v22
	v_fmac_f16_e32 v62, v77, v23
	;; [unrolled: 1-line block ×4, first 2 shown]
	v_sub_f16_e32 v82, v87, v66
	v_add_f16_e32 v78, v87, v66
	v_sub_f16_e32 v86, v79, v33
	v_add_f16_e32 v77, v81, v34
	;; [unrolled: 2-line block ×3, first 2 shown]
	v_add_f16_e32 v81, v84, v81
	v_add_f16_e32 v79, v85, v79
	v_mul_f16_sdwa v42, v68, v17 dst_sel:DWORD dst_unused:UNUSED_PAD src0_sel:DWORD src1_sel:WORD_1
	v_mul_f16_sdwa v59, v70, v19 dst_sel:DWORD dst_unused:UNUSED_PAD src0_sel:DWORD src1_sel:WORD_1
	v_fma_f16 v64, v60, v23, -v89
	v_fma_f16 v60, v61, v16, -v90
	;; [unrolled: 1-line block ×3, first 2 shown]
	v_sub_f16_e32 v72, v36, v31
	v_add_f16_e32 v68, v76, v35
	v_sub_f16_e32 v89, v76, v35
	v_add_f16_e32 v90, v36, v31
	v_add_f16_e32 v76, v81, v76
	;; [unrolled: 1-line block ×3, first 2 shown]
	v_mul_f16_sdwa v93, v83, v19 dst_sel:DWORD dst_unused:UNUSED_PAD src0_sel:DWORD src1_sel:WORD_1
	v_fmac_f16_e32 v42, v80, v17
	v_fmac_f16_e32 v59, v83, v19
	v_sub_f16_e32 v83, v97, v67
	v_add_f16_e32 v80, v97, v67
	v_mul_f16_e32 v91, 0xb770, v82
	v_add_f16_e32 v76, v76, v64
	v_add_f16_e32 v36, v36, v62
	v_fma_f16 v57, v69, v18, -v92
	v_fma_f16 v61, v70, v19, -v93
	;; [unrolled: 1-line block ×3, first 2 shown]
	v_mul_f16_e32 v92, 0xb770, v83
	v_mul_f16_e32 v93, 0xba95, v82
	;; [unrolled: 1-line block ×12, first 2 shown]
	v_fma_f16 v130, v80, 0x3b15, -v91
	v_fmac_f16_e32 v91, 0x3b15, v80
	v_add_f16_e32 v76, v76, v60
	v_add_f16_e32 v36, v36, v58
	v_sub_f16_e32 v73, v62, v63
	v_mul_f16_e32 v102, 0xbbf1, v72
	v_fma_f16 v131, v80, 0x388b, -v93
	v_fmac_f16_e32 v93, 0x388b, v80
	v_fma_f16 v132, v80, 0x2fb7, -v95
	v_fmac_f16_e32 v95, 0x2fb7, v80
	;; [unrolled: 2-line block ×5, first 2 shown]
	v_fmamk_f16 v80, v78, 0x3b15, v92
	v_fma_f16 v92, v78, 0x3b15, -v92
	v_fmamk_f16 v136, v78, 0x388b, v94
	v_fma_f16 v94, v78, 0x388b, -v94
	;; [unrolled: 2-line block ×6, first 2 shown]
	v_fma_f16 v83, v77, 0x388b, -v101
	v_fmac_f16_e32 v101, 0x388b, v77
	v_add_f16_e32 v91, v91, v29
	v_add_f16_e32 v76, v76, v30
	;; [unrolled: 1-line block ×4, first 2 shown]
	v_sub_f16_e32 v74, v58, v59
	v_mul_f16_e32 v103, 0xbb7b, v73
	v_mul_f16_e32 v106, 0xbb7b, v86
	;; [unrolled: 1-line block ×3, first 2 shown]
	v_fma_f16 v141, v68, 0x2fb7, -v102
	v_fmac_f16_e32 v102, 0x2fb7, v68
	v_add_f16_e32 v130, v130, v29
	v_add_f16_sdwa v80, v80, v29 dst_sel:DWORD dst_unused:UNUSED_PAD src0_sel:DWORD src1_sel:WORD_1
	v_add_f16_sdwa v92, v92, v29 dst_sel:DWORD dst_unused:UNUSED_PAD src0_sel:DWORD src1_sel:WORD_1
	v_add_f16_e32 v131, v131, v29
	v_add_f16_sdwa v136, v136, v29 dst_sel:DWORD dst_unused:UNUSED_PAD src0_sel:DWORD src1_sel:WORD_1
	v_add_f16_e32 v93, v93, v29
	;; [unrolled: 2-line block ×11, first 2 shown]
	v_add_f16_e32 v76, v76, v57
	v_add_f16_e32 v36, v36, v56
	;; [unrolled: 1-line block ×3, first 2 shown]
	v_sub_f16_e32 v75, v42, v56
	v_mul_f16_e32 v104, 0xb94e, v74
	v_mul_f16_e32 v108, 0xb3a8, v72
	;; [unrolled: 1-line block ×3, first 2 shown]
	v_fma_f16 v142, v69, 0xb5ac, -v103
	v_fmac_f16_e32 v103, 0xb5ac, v69
	v_fma_f16 v145, v77, 0xb5ac, -v106
	v_fmac_f16_e32 v106, 0xb5ac, v77
	;; [unrolled: 2-line block ×3, first 2 shown]
	v_add_f16_e32 v78, v102, v78
	v_add_f16_e32 v76, v76, v61
	;; [unrolled: 1-line block ×4, first 2 shown]
	v_mul_f16_e32 v105, 0xb3a8, v75
	v_mul_f16_e32 v110, 0x394e, v73
	;; [unrolled: 1-line block ×3, first 2 shown]
	v_fma_f16 v143, v70, 0xb9fd, -v104
	v_fmac_f16_e32 v104, 0xb9fd, v70
	v_fma_f16 v147, v68, 0xbbc4, -v108
	v_fmac_f16_e32 v108, 0xbbc4, v68
	;; [unrolled: 2-line block ×3, first 2 shown]
	v_add_f16_e32 v91, v106, v93
	v_add_f16_e32 v93, v107, v95
	;; [unrolled: 1-line block ×5, first 2 shown]
	v_mul_f16_e32 v112, 0x3bf1, v74
	v_mul_f16_e32 v113, 0xba95, v74
	;; [unrolled: 1-line block ×6, first 2 shown]
	v_fma_f16 v144, v71, 0xbbc4, -v105
	v_fmac_f16_e32 v105, 0xbbc4, v71
	v_fma_f16 v149, v69, 0xb9fd, -v110
	v_fmac_f16_e32 v110, 0xb9fd, v69
	;; [unrolled: 2-line block ×3, first 2 shown]
	v_add_f16_e32 v91, v108, v91
	v_add_f16_e32 v93, v109, v93
	;; [unrolled: 1-line block ×5, first 2 shown]
	v_mul_f16_e32 v114, 0x3770, v75
	v_mul_f16_e32 v115, 0xb94e, v75
	;; [unrolled: 1-line block ×8, first 2 shown]
	v_fma_f16 v151, v70, 0x2fb7, -v112
	v_fmac_f16_e32 v112, 0x2fb7, v70
	v_fma_f16 v152, v70, 0x388b, -v113
	v_fmac_f16_e32 v113, 0x388b, v70
	;; [unrolled: 2-line block ×5, first 2 shown]
	v_fmamk_f16 v77, v88, 0x388b, v84
	v_add_f16_e32 v91, v110, v91
	v_add_f16_e32 v93, v111, v93
	;; [unrolled: 1-line block ×5, first 2 shown]
	v_fma_f16 v84, v88, 0x388b, -v84
	v_fmamk_f16 v156, v88, 0xb5ac, v85
	v_fma_f16 v85, v88, 0xb5ac, -v85
	v_fmamk_f16 v157, v88, 0xbbc4, v126
	;; [unrolled: 2-line block ×5, first 2 shown]
	v_fma_f16 v87, v88, 0x3b15, -v87
	v_fma_f16 v88, v71, 0x3b15, -v114
	v_fmac_f16_e32 v114, 0x3b15, v71
	v_fma_f16 v81, v71, 0xb9fd, -v115
	v_fmac_f16_e32 v115, 0xb9fd, v71
	v_add_f16_e32 v77, v77, v80
	v_add_f16_e32 v91, v112, v91
	;; [unrolled: 1-line block ×4, first 2 shown]
	v_add_f16_sdwa v66, v76, v66 dst_sel:WORD_1 dst_unused:UNUSED_PAD src0_sel:DWORD src1_sel:DWORD
	v_add_f16_e32 v78, v86, v82
	v_fmamk_f16 v82, v90, 0x2fb7, v129
	v_mul_f16_e32 v118, 0x3770, v72
	v_mul_f16_e32 v119, 0xba95, v72
	v_add_f16_e32 v36, v114, v91
	v_add_f16_e32 v35, v115, v93
	v_mul_f16_e32 v86, 0xb3a8, v89
	v_or_b32_sdwa v66, v66, v67 dst_sel:DWORD dst_unused:UNUSED_PAD src0_sel:DWORD src1_sel:WORD_0
	v_add_f16_e32 v67, v82, v77
	v_mul_f16_e32 v82, 0x3b7b, v89
	v_mul_f16_e32 v91, 0x3770, v89
	;; [unrolled: 1-line block ×5, first 2 shown]
	v_sub_f16_e32 v64, v64, v65
	v_fma_f16 v79, v68, 0x3b15, -v118
	v_fmac_f16_e32 v118, 0x3b15, v68
	v_fma_f16 v161, v68, 0x388b, -v119
	v_fmac_f16_e32 v119, 0x388b, v68
	v_add_f16_e32 v76, v160, v140
	v_fma_f16 v65, v68, 0xb9fd, -v72
	v_fmac_f16_e32 v72, 0xb9fd, v68
	v_fmamk_f16 v68, v90, 0xb9fd, v89
	v_add_f16_e32 v62, v62, v63
	v_mul_f16_e32 v63, 0xbb7b, v64
	v_add_f16_e32 v80, v84, v92
	v_add_f16_e32 v84, v145, v131
	;; [unrolled: 1-line block ×6, first 2 shown]
	v_fma_f16 v87, v90, 0x2fb7, -v129
	v_fmamk_f16 v77, v90, 0xbbc4, v86
	v_fma_f16 v86, v90, 0xbbc4, -v86
	v_fma_f16 v89, v90, 0xb9fd, -v89
	v_add_f16_e32 v68, v68, v76
	v_add_f16_e32 v72, v72, v78
	v_fmamk_f16 v76, v62, 0xb5ac, v63
	v_mul_f16_e32 v78, 0x394e, v64
	v_add_f16_e32 v95, v116, v97
	v_add_f16_e32 v97, v117, v98
	;; [unrolled: 1-line block ×6, first 2 shown]
	v_fmamk_f16 v87, v90, 0xb5ac, v82
	v_add_f16_e32 v85, v86, v85
	v_add_f16_e32 v86, v148, v94
	;; [unrolled: 1-line block ×3, first 2 shown]
	v_fma_f16 v63, v62, 0xb5ac, -v63
	v_add_f16_e32 v67, v76, v67
	v_fmamk_f16 v76, v62, 0xb9fd, v78
	v_mul_f16_e32 v89, 0x3770, v64
	v_fma_f16 v78, v62, 0xb9fd, -v78
	v_mul_f16_e32 v120, 0xbbf1, v73
	v_mul_f16_e32 v121, 0x33a8, v73
	v_add_f16_e32 v96, v126, v96
	v_add_f16_e32 v106, v158, v138
	v_fma_f16 v82, v90, 0xb5ac, -v82
	v_add_f16_e32 v87, v87, v98
	v_fmamk_f16 v92, v90, 0x3b15, v91
	v_add_f16_e32 v63, v63, v80
	v_add_f16_e32 v80, v149, v84
	;; [unrolled: 1-line block ×3, first 2 shown]
	v_fmamk_f16 v77, v62, 0x3b15, v89
	v_mul_f16_e32 v84, 0xbbf1, v64
	v_add_f16_e32 v78, v78, v85
	v_add_f16_e32 v85, v150, v86
	v_fma_f16 v86, v62, 0x3b15, -v89
	v_mul_f16_e32 v89, 0x33a8, v64
	v_mul_f16_e32 v73, 0x3a95, v73
	;; [unrolled: 1-line block ×3, first 2 shown]
	v_sub_f16_e32 v60, v60, v61
	v_fma_f16 v162, v69, 0x2fb7, -v120
	v_fmac_f16_e32 v120, 0x2fb7, v69
	v_fma_f16 v163, v69, 0xbbc4, -v121
	v_fmac_f16_e32 v121, 0xbbc4, v69
	v_add_f16_e32 v117, v155, v135
	v_add_f16_e32 v82, v82, v96
	;; [unrolled: 1-line block ×4, first 2 shown]
	v_fmamk_f16 v87, v62, 0x2fb7, v84
	v_fma_f16 v61, v69, 0x388b, -v73
	v_fmac_f16_e32 v73, 0x388b, v69
	v_fmamk_f16 v69, v62, 0x388b, v64
	v_add_f16_e32 v58, v58, v59
	v_mul_f16_e32 v59, 0xb94e, v60
	v_add_f16_e32 v65, v65, v117
	v_fma_f16 v84, v62, 0x2fb7, -v84
	v_add_f16_e32 v82, v86, v82
	v_add_f16_e32 v86, v87, v92
	v_fmamk_f16 v87, v62, 0xbbc4, v89
	v_fma_f16 v89, v62, 0xbbc4, -v89
	v_fma_f16 v62, v62, 0x388b, -v64
	v_add_f16_e32 v64, v69, v68
	v_fmamk_f16 v68, v58, 0xb9fd, v59
	v_mul_f16_e32 v69, 0x3bf1, v60
	v_add_f16_e32 v61, v61, v65
	v_add_f16_e32 v65, v73, v72
	v_fma_f16 v59, v58, 0xb9fd, -v59
	v_add_f16_e32 v67, v68, v67
	v_fmamk_f16 v68, v58, 0x2fb7, v69
	v_mul_f16_e32 v72, 0xba95, v60
	v_mul_f16_e32 v122, 0x33a8, v74
	;; [unrolled: 1-line block ×3, first 2 shown]
	v_add_f16_e32 v59, v59, v63
	v_fma_f16 v63, v58, 0x2fb7, -v69
	v_add_f16_e32 v69, v151, v80
	v_add_f16_e32 v68, v68, v76
	v_fmamk_f16 v73, v58, 0x388b, v72
	v_mul_f16_e32 v76, 0x33a8, v60
	v_fma_f16 v72, v58, 0x388b, -v72
	v_mul_f16_e32 v80, 0x3770, v60
	v_mul_f16_e32 v74, 0xbb7b, v74
	;; [unrolled: 1-line block ×3, first 2 shown]
	v_sub_f16_e32 v30, v30, v57
	v_add_f16_e32 v95, v118, v95
	v_fma_f16 v164, v70, 0xbbc4, -v122
	v_fmac_f16_e32 v122, 0xbbc4, v70
	v_fma_f16 v165, v70, 0x3b15, -v123
	v_fmac_f16_e32 v123, 0x3b15, v70
	v_add_f16_e32 v99, v127, v99
	v_fma_f16 v91, v90, 0x3b15, -v91
	v_add_f16_e32 v29, v62, v29
	v_add_f16_e32 v73, v73, v77
	v_fmamk_f16 v77, v58, 0xbbc4, v76
	v_fma_f16 v76, v58, 0xbbc4, -v76
	v_add_f16_e32 v72, v72, v82
	v_fmamk_f16 v82, v58, 0x3b15, v80
	v_fma_f16 v80, v58, 0x3b15, -v80
	v_fma_f16 v57, v70, 0xb5ac, -v74
	v_fmac_f16_e32 v74, 0xb5ac, v70
	v_fmamk_f16 v70, v58, 0xb5ac, v60
	v_add_f16_e32 v42, v42, v56
	v_mul_f16_e32 v56, 0xb3a8, v30
	v_fma_f16 v58, v58, 0xb5ac, -v60
	v_mul_f16_e32 v124, 0x3a95, v75
	v_add_f16_e32 v83, v83, v130
	v_add_f16_e32 v95, v120, v95
	;; [unrolled: 1-line block ×4, first 2 shown]
	v_fmamk_f16 v94, v90, 0x388b, v93
	v_add_f16_e32 v91, v91, v99
	v_fma_f16 v93, v90, 0x388b, -v93
	v_add_f16_e32 v60, v57, v61
	v_fmamk_f16 v57, v42, 0xbbc4, v56
	v_mul_f16_e32 v61, 0x3770, v30
	v_add_f16_e32 v29, v58, v29
	v_fma_f16 v56, v42, 0xbbc4, -v56
	v_mul_f16_e32 v58, 0xb94e, v30
	v_fma_f16 v166, v71, 0x388b, -v124
	v_fmac_f16_e32 v124, 0x388b, v71
	v_add_f16_e32 v101, v153, v133
	v_add_f16_e32 v107, v154, v134
	;; [unrolled: 1-line block ×10, first 2 shown]
	v_fmamk_f16 v57, v42, 0x3b15, v61
	v_add_f16_e32 v56, v56, v59
	v_fma_f16 v59, v42, 0x3b15, -v61
	v_fmamk_f16 v61, v42, 0xb9fd, v58
	v_mul_f16_e32 v70, 0x3a95, v30
	v_add_f16_e32 v34, v124, v95
	v_add_f16_e32 v79, v79, v101
	;; [unrolled: 1-line block ×11, first 2 shown]
	v_fmamk_f16 v59, v42, 0x388b, v70
	v_fma_f16 v61, v42, 0x388b, -v70
	v_mul_f16_e32 v70, 0xbb7b, v30
	v_add_f16_e32 v97, v119, v97
	v_mul_f16_e32 v125, 0xbb7b, v75
	v_add_f16_e32 v79, v162, v79
	v_add_f16_e32 v90, v163, v95
	;; [unrolled: 1-line block ×9, first 2 shown]
	v_fmamk_f16 v61, v42, 0xb5ac, v70
	v_fma_f16 v70, v42, 0xb5ac, -v70
	v_mul_f16_e32 v75, 0x3bf1, v75
	v_mul_f16_e32 v30, 0x3bf1, v30
	v_add_f16_e32 v97, v121, v97
	v_fma_f16 v167, v71, 0xb5ac, -v125
	v_add_f16_e32 v79, v164, v79
	v_add_f16_e32 v83, v165, v90
	;; [unrolled: 1-line block ×3, first 2 shown]
	v_fma_f16 v58, v42, 0xb9fd, -v58
	v_add_f16_e32 v63, v81, v78
	v_add_f16_e32 v77, v61, v82
	;; [unrolled: 1-line block ×3, first 2 shown]
	v_fma_f16 v70, v71, 0x2fb7, -v75
	v_fmamk_f16 v78, v42, 0x2fb7, v30
	v_fmac_f16_e32 v75, 0x2fb7, v71
	v_fma_f16 v30, v42, 0x2fb7, -v30
	v_fmac_f16_e32 v125, 0xb5ac, v71
	v_add_f16_e32 v97, v123, v97
	v_add_f16_e32 v69, v88, v69
	;; [unrolled: 1-line block ×5, first 2 shown]
	v_pack_b32_f16 v42, v62, v67
	v_add_f16_e32 v67, v70, v60
	v_add_f16_e32 v64, v78, v64
	;; [unrolled: 1-line block ×5, first 2 shown]
	v_pack_b32_f16 v29, v69, v68
	v_pack_b32_f16 v30, v63, v73
	ds_write2_b32 v43, v66, v42 offset1:91
	v_pack_b32_f16 v42, v72, v74
	v_pack_b32_f16 v63, v76, v77
	;; [unrolled: 1-line block ×8, first 2 shown]
	ds_write2_b32 v37, v29, v30 offset0:54 offset1:145
	ds_write2_b32 v39, v42, v63 offset0:108 offset1:199
	;; [unrolled: 1-line block ×5, first 2 shown]
	v_pack_b32_f16 v37, v31, v56
	v_add_co_u32 v29, s0, 0x1000, v26
	v_add_co_ci_u32_e64 v30, s0, 0, v27, s0
	ds_write_b32 v43, v37 offset:4368
	v_add_co_u32 v37, s0, 0x127c, v26
	v_add_co_ci_u32_e64 v38, s0, 0, v27, s0
	v_add_co_u32 v63, s0, 0x1800, v26
	v_add_co_ci_u32_e64 v64, s0, 0, v27, s0
	;; [unrolled: 2-line block ×3, first 2 shown]
	s_waitcnt lgkmcnt(0)
	s_barrier
	buffer_gl0_inv
	s_clause 0x6
	global_load_dword v40, v[29:30], off offset:636
	global_load_dword v42, v[37:38], off offset:676
	;; [unrolled: 1-line block ×7, first 2 shown]
	ds_read2_b32 v[63:64], v43 offset1:169
	ds_read2_b32 v[65:66], v39 offset0:82 offset1:251
	ds_read2_b32 v[67:68], v41 offset0:36 offset1:205
	ds_read_b32 v74, v43 offset:4056
	s_waitcnt lgkmcnt(3)
	v_lshrrev_b32_e32 v75, 16, v63
	v_lshrrev_b32_e32 v76, 16, v64
	s_waitcnt lgkmcnt(2)
	v_lshrrev_b32_e32 v77, 16, v65
	v_lshrrev_b32_e32 v78, 16, v66
	;; [unrolled: 3-line block ×3, first 2 shown]
	s_waitcnt lgkmcnt(0)
	v_lshrrev_b32_e32 v81, 16, v74
	s_waitcnt vmcnt(6)
	v_mul_f16_sdwa v82, v63, v40 dst_sel:DWORD dst_unused:UNUSED_PAD src0_sel:DWORD src1_sel:WORD_1
	v_mul_f16_sdwa v83, v75, v40 dst_sel:DWORD dst_unused:UNUSED_PAD src0_sel:DWORD src1_sel:WORD_1
	s_waitcnt vmcnt(5)
	v_mul_f16_sdwa v84, v76, v42 dst_sel:DWORD dst_unused:UNUSED_PAD src0_sel:DWORD src1_sel:WORD_1
	v_mul_f16_sdwa v85, v64, v42 dst_sel:DWORD dst_unused:UNUSED_PAD src0_sel:DWORD src1_sel:WORD_1
	;; [unrolled: 3-line block ×7, first 2 shown]
	v_fmac_f16_e32 v82, v75, v40
	v_fma_f16 v40, v63, v40, -v83
	v_fma_f16 v63, v64, v42, -v84
	v_fmac_f16_e32 v85, v76, v42
	v_fmac_f16_e32 v86, v77, v69
	v_fma_f16 v42, v65, v69, -v87
	v_fma_f16 v64, v66, v70, -v88
	v_fmac_f16_e32 v89, v78, v70
	;; [unrolled: 4-line block ×3, first 2 shown]
	v_fma_f16 v67, v74, v73, -v94
	v_fmac_f16_e32 v95, v81, v73
	v_pack_b32_f16 v40, v40, v82
	v_pack_b32_f16 v63, v63, v85
	;; [unrolled: 1-line block ×7, first 2 shown]
	ds_write2_b32 v43, v40, v63 offset1:169
	ds_write2_b32 v39, v42, v64 offset0:82 offset1:251
	ds_write2_b32 v41, v65, v66 offset0:36 offset1:205
	ds_write_b32 v43, v67 offset:4056
	s_and_saveexec_b32 s1, vcc_lo
	s_cbranch_execz .LBB0_9
; %bb.8:
	v_add_co_u32 v63, s0, 0x800, v37
	v_add_co_ci_u32_e64 v64, s0, 0, v38, s0
	s_clause 0x1
	global_load_dword v40, v[37:38], off offset:364
	global_load_dword v42, v[37:38], off offset:1040
	v_add_nc_u32_e32 v72, 0x100, v43
	s_clause 0x1
	global_load_dword v67, v[37:38], off offset:1716
	global_load_dword v68, v[63:64], off offset:344
	v_add_co_u32 v37, s0, 0x1000, v37
	v_add_co_ci_u32_e64 v38, s0, 0, v38, s0
	s_clause 0x2
	global_load_dword v69, v[63:64], off offset:1020
	global_load_dword v70, v[63:64], off offset:1696
	;; [unrolled: 1-line block ×3, first 2 shown]
	v_add_nc_u32_e32 v73, 0x600, v43
	v_add_nc_u32_e32 v74, 0xb00, v43
	ds_read_b32 v75, v43 offset:4420
	ds_read2_b32 v[37:38], v72 offset0:27 offset1:196
	ds_read2_b32 v[63:64], v73 offset0:45 offset1:214
	;; [unrolled: 1-line block ×3, first 2 shown]
	s_waitcnt lgkmcnt(3)
	v_lshrrev_b32_e32 v76, 16, v75
	s_waitcnt lgkmcnt(2)
	v_lshrrev_b32_e32 v77, 16, v37
	v_lshrrev_b32_e32 v78, 16, v38
	s_waitcnt lgkmcnt(1)
	v_lshrrev_b32_e32 v79, 16, v63
	;; [unrolled: 3-line block ×3, first 2 shown]
	v_lshrrev_b32_e32 v82, 16, v66
	s_waitcnt vmcnt(6)
	v_mul_f16_sdwa v83, v77, v40 dst_sel:DWORD dst_unused:UNUSED_PAD src0_sel:DWORD src1_sel:WORD_1
	v_mul_f16_sdwa v84, v37, v40 dst_sel:DWORD dst_unused:UNUSED_PAD src0_sel:DWORD src1_sel:WORD_1
	s_waitcnt vmcnt(5)
	v_mul_f16_sdwa v85, v78, v42 dst_sel:DWORD dst_unused:UNUSED_PAD src0_sel:DWORD src1_sel:WORD_1
	v_mul_f16_sdwa v86, v38, v42 dst_sel:DWORD dst_unused:UNUSED_PAD src0_sel:DWORD src1_sel:WORD_1
	;; [unrolled: 3-line block ×3, first 2 shown]
	v_fma_f16 v37, v37, v40, -v83
	v_fmac_f16_e32 v84, v77, v40
	v_fma_f16 v38, v38, v42, -v85
	v_fmac_f16_e32 v86, v78, v42
	v_fma_f16 v40, v63, v67, -v87
	s_waitcnt vmcnt(3)
	v_mul_f16_sdwa v42, v80, v68 dst_sel:DWORD dst_unused:UNUSED_PAD src0_sel:DWORD src1_sel:WORD_1
	v_mul_f16_sdwa v63, v64, v68 dst_sel:DWORD dst_unused:UNUSED_PAD src0_sel:DWORD src1_sel:WORD_1
	v_fmac_f16_e32 v88, v79, v67
	s_waitcnt vmcnt(2)
	v_mul_f16_sdwa v67, v81, v69 dst_sel:DWORD dst_unused:UNUSED_PAD src0_sel:DWORD src1_sel:WORD_1
	v_mul_f16_sdwa v77, v65, v69 dst_sel:DWORD dst_unused:UNUSED_PAD src0_sel:DWORD src1_sel:WORD_1
	s_waitcnt vmcnt(1)
	v_mul_f16_sdwa v78, v82, v70 dst_sel:DWORD dst_unused:UNUSED_PAD src0_sel:DWORD src1_sel:WORD_1
	v_mul_f16_sdwa v79, v66, v70 dst_sel:DWORD dst_unused:UNUSED_PAD src0_sel:DWORD src1_sel:WORD_1
	;; [unrolled: 3-line block ×3, first 2 shown]
	v_fma_f16 v42, v64, v68, -v42
	v_fmac_f16_e32 v63, v80, v68
	v_fma_f16 v64, v65, v69, -v67
	v_fmac_f16_e32 v77, v81, v69
	;; [unrolled: 2-line block ×4, first 2 shown]
	v_pack_b32_f16 v37, v37, v84
	v_pack_b32_f16 v38, v38, v86
	;; [unrolled: 1-line block ×7, first 2 shown]
	ds_write2_b32 v72, v37, v38 offset0:27 offset1:196
	ds_write2_b32 v73, v40, v42 offset0:45 offset1:214
	;; [unrolled: 1-line block ×3, first 2 shown]
	ds_write_b32 v43, v65 offset:4420
.LBB0_9:
	s_or_b32 exec_lo, exec_lo, s1
	s_waitcnt lgkmcnt(0)
	s_barrier
	buffer_gl0_inv
	ds_read2_b32 v[37:38], v43 offset1:169
	ds_read2_b32 v[39:40], v39 offset0:82 offset1:251
	ds_read2_b32 v[41:42], v41 offset0:36 offset1:205
	ds_read_b32 v63, v43 offset:4056
	s_and_saveexec_b32 s0, vcc_lo
	s_cbranch_execz .LBB0_11
; %bb.10:
	v_lshl_add_u32 v31, v49, 2, v52
	ds_read_b32 v60, v43 offset:364
	v_add_nc_u32_e32 v32, 0x400, v31
	v_add_nc_u32_e32 v35, 0x800, v31
	;; [unrolled: 1-line block ×3, first 2 shown]
	ds_read2_b32 v[33:34], v32 offset0:4 offset1:173
	ds_read2_b32 v[35:36], v35 offset0:86 offset1:255
	;; [unrolled: 1-line block ×3, first 2 shown]
	s_waitcnt lgkmcnt(3)
	v_lshrrev_b32_e32 v62, 16, v60
	s_waitcnt lgkmcnt(2)
	v_lshrrev_b32_e32 v61, 16, v33
	v_lshrrev_b32_e32 v59, 16, v34
	s_waitcnt lgkmcnt(1)
	v_lshrrev_b32_e32 v58, 16, v35
	;; [unrolled: 3-line block ×3, first 2 shown]
.LBB0_11:
	s_or_b32 exec_lo, exec_lo, s0
	s_waitcnt lgkmcnt(0)
	v_pk_add_f16 v64, v38, v63
	v_pk_add_f16 v65, v39, v42
	v_pk_add_f16 v39, v39, v42 neg_lo:[0,1] neg_hi:[0,1]
	v_pk_add_f16 v42, v40, v41
	v_pk_add_f16 v38, v38, v63 neg_lo:[0,1] neg_hi:[0,1]
	v_pk_add_f16 v40, v41, v40 neg_lo:[0,1] neg_hi:[0,1]
	v_pk_add_f16 v63, v65, v64
	v_pk_add_f16 v41, v65, v64 neg_lo:[0,1] neg_hi:[0,1]
	v_pk_add_f16 v64, v64, v42 neg_lo:[0,1] neg_hi:[0,1]
	v_pk_add_f16 v68, v39, v38 op_sel:[1,1] op_sel_hi:[0,0] neg_lo:[0,1] neg_hi:[0,1]
	v_pk_add_f16 v66, v40, v39 op_sel:[1,1] op_sel_hi:[0,0]
	v_pk_add_f16 v63, v42, v63
	v_pk_add_f16 v67, v38, v40 op_sel:[1,1] op_sel_hi:[0,0] neg_lo:[0,1] neg_hi:[0,1]
	v_pk_mul_f16 v64, 0x3a52, v64 op_sel_hi:[0,1]
	v_pk_add_f16 v39, v40, v39 op_sel:[1,1] op_sel_hi:[0,0] neg_lo:[0,1] neg_hi:[0,1]
	v_pk_mul_f16 v40, 0xbb00, v68 op_sel_hi:[0,1]
	v_pk_add_f16 v37, v63, v37
	v_pk_add_f16 v42, v42, v65 neg_lo:[0,1] neg_hi:[0,1]
	v_pk_fma_f16 v65, 0x39e0, v41, v64 op_sel_hi:[0,1,1] neg_lo:[0,1,1] neg_hi:[0,1,1]
	v_pk_mul_f16 v41, 0x39e0, v41 op_sel_hi:[0,1]
	v_pk_add_f16 v38, v66, v38 op_sel:[0,1] op_sel_hi:[1,0]
	v_pk_fma_f16 v66, 0xb574, v67, v40 op_sel_hi:[0,1,1] neg_lo:[0,1,1] neg_hi:[0,1,1]
	v_pk_mul_f16 v67, 0xb574, v67 op_sel_hi:[0,1]
	v_pk_fma_f16 v63, 0xbcab, v63, v37 op_sel_hi:[0,1,1]
	v_pk_fma_f16 v41, 0x2b26, v42, v41 op_sel_hi:[0,1,1] neg_lo:[0,1,0] neg_hi:[0,1,0]
	v_pk_fma_f16 v40, 0x3846, v39, v40 op_sel_hi:[0,1,1] neg_lo:[0,1,0] neg_hi:[0,1,0]
	v_pk_fma_f16 v42, 0x2b26, v42, v64 op_sel_hi:[0,1,1]
	v_pk_fma_f16 v39, 0x3846, v39, v67 op_sel_hi:[0,1,1]
	v_pk_add_f16 v65, v65, v63
	v_pk_add_f16 v41, v41, v63
	v_pk_fma_f16 v40, 0xb70e, v38, v40 op_sel_hi:[0,1,1]
	v_pk_fma_f16 v66, 0xb70e, v38, v66 op_sel_hi:[0,1,1]
	v_pk_add_f16 v42, v42, v63
	v_pk_fma_f16 v38, 0xb70e, v38, v39 op_sel_hi:[0,1,1]
	v_pk_add_f16 v63, v41, v40 neg_lo:[0,1] neg_hi:[0,1]
	v_pk_add_f16 v40, v41, v40
	v_pk_add_f16 v64, v65, v66
	v_pk_add_f16 v39, v65, v66 neg_lo:[0,1] neg_hi:[0,1]
	v_pk_add_f16 v41, v42, v38
	v_pk_add_f16 v38, v42, v38 neg_lo:[0,1] neg_hi:[0,1]
	v_bfi_b32 v65, 0xffff, v63, v40
	v_bfi_b32 v40, 0xffff, v40, v63
	;; [unrolled: 1-line block ×6, first 2 shown]
	s_barrier
	buffer_gl0_inv
	ds_write_b32 v54, v37
	ds_write2_b32 v54, v65, v40 offset0:3 offset1:4
	ds_write2_b32 v54, v63, v42 offset0:1 offset1:2
	ds_write2_b32 v54, v39, v38 offset0:5 offset1:6
	s_and_saveexec_b32 s0, vcc_lo
	s_cbranch_execz .LBB0_13
; %bb.12:
	v_add_f16_sdwa v40, v32, v61 dst_sel:DWORD dst_unused:UNUSED_PAD src0_sel:WORD_1 src1_sel:DWORD
	v_add_f16_e32 v54, v56, v59
	v_add_f16_e32 v41, v58, v57
	v_sub_f16_e32 v38, v34, v31
	v_sub_f16_e32 v39, v33, v32
	v_add_f16_e32 v33, v32, v33
	v_add_f16_e32 v64, v54, v40
	;; [unrolled: 1-line block ×3, first 2 shown]
	v_sub_f16_e32 v37, v36, v35
	v_add_f16_e32 v35, v35, v36
	v_sub_f16_e32 v36, v40, v41
	v_add_f16_e32 v64, v41, v64
	v_sub_f16_e32 v34, v41, v54
	v_sub_f16_e32 v57, v57, v58
	;; [unrolled: 1-line block ×4, first 2 shown]
	v_add_f16_e32 v41, v62, v64
	v_add_f16_e32 v62, v31, v33
	v_sub_f16_sdwa v32, v61, v32 dst_sel:DWORD dst_unused:UNUSED_PAD src0_sel:DWORD src1_sel:WORD_1
	v_sub_f16_e32 v42, v37, v38
	v_mul_f16_e32 v58, 0x3a52, v67
	v_sub_f16_e32 v63, v39, v37
	v_add_f16_e32 v62, v35, v62
	v_sub_f16_e32 v35, v35, v31
	v_add_f16_e32 v37, v37, v38
	v_sub_f16_e32 v67, v32, v57
	v_sub_f16_e32 v38, v38, v39
	v_add_f16_e32 v59, v60, v62
	v_sub_f16_e32 v60, v57, v56
	v_add_f16_e32 v57, v57, v56
	v_sub_f16_e32 v31, v31, v33
	v_sub_f16_e32 v33, v56, v32
	v_mul_f16_e32 v42, 0x3846, v42
	v_mul_f16_e32 v36, 0x3a52, v36
	;; [unrolled: 1-line block ×3, first 2 shown]
	v_fmamk_f16 v61, v35, 0x2b26, v58
	v_fmamk_f16 v62, v62, 0xbcab, v59
	v_mul_f16_e32 v60, 0x3846, v60
	v_sub_f16_e32 v40, v54, v40
	v_mul_f16_e32 v35, 0x2b26, v35
	v_mul_f16_e32 v69, 0xbb00, v38
	v_add_f16_e32 v32, v57, v32
	v_mul_f16_e32 v57, 0xbb00, v33
	v_add_f16_e32 v37, v37, v39
	v_fmamk_f16 v65, v63, 0xb574, v42
	v_fmamk_f16 v34, v34, 0x2b26, v36
	;; [unrolled: 1-line block ×3, first 2 shown]
	v_add_f16_e32 v39, v61, v62
	v_fmamk_f16 v61, v67, 0xb574, v60
	v_fma_f16 v36, v40, 0xb9e0, -v36
	v_fma_f16 v40, v40, 0x39e0, -v66
	;; [unrolled: 1-line block ×8, first 2 shown]
	v_fmac_f16_e32 v65, 0xb70e, v37
	v_add_f16_e32 v34, v34, v64
	v_fmac_f16_e32 v61, 0xb70e, v32
	v_add_f16_e32 v35, v40, v64
	v_fmac_f16_e32 v38, 0xb70e, v37
	v_fmac_f16_e32 v54, 0xb70e, v37
	v_add_f16_e32 v36, v36, v64
	v_add_f16_e32 v56, v56, v62
	v_fmac_f16_e32 v57, 0xb70e, v32
	v_fmac_f16_e32 v33, 0xb70e, v32
	v_add_f16_e32 v31, v31, v62
	v_add_f16_e32 v68, v65, v34
	v_sub_f16_e32 v42, v35, v38
	v_add_f16_e32 v35, v38, v35
	v_sub_f16_e32 v34, v34, v65
	v_add_f16_e32 v38, v39, v61
	v_add_f16_e32 v37, v54, v36
	;; [unrolled: 1-line block ×3, first 2 shown]
	v_sub_f16_e32 v31, v31, v33
	v_sub_f16_e32 v33, v36, v54
	v_add_f16_e32 v36, v57, v56
	v_sub_f16_e32 v40, v56, v57
	v_sub_f16_e32 v32, v39, v61
	v_lshl_add_u32 v39, v53, 2, v52
	v_pack_b32_f16 v34, v38, v34
	v_pack_b32_f16 v38, v59, v41
	v_pack_b32_f16 v31, v31, v35
	v_pack_b32_f16 v33, v36, v33
	v_pack_b32_f16 v35, v40, v37
	v_pack_b32_f16 v36, v58, v42
	v_pack_b32_f16 v32, v32, v68
	ds_write2_b32 v39, v38, v34 offset1:1
	ds_write2_b32 v39, v33, v31 offset0:2 offset1:3
	ds_write2_b32 v39, v36, v35 offset0:4 offset1:5
	ds_write_b32 v39, v32 offset:24
.LBB0_13:
	s_or_b32 exec_lo, exec_lo, s0
	v_add_nc_u32_e32 v33, 0x200, v43
	s_waitcnt lgkmcnt(0)
	s_barrier
	buffer_gl0_inv
	ds_read2_b32 v[36:37], v43 offset1:91
	v_add_nc_u32_e32 v32, 0x400, v43
	ds_read2_b32 v[38:39], v33 offset0:54 offset1:145
	v_add_nc_u32_e32 v34, 0x800, v43
	v_add_nc_u32_e32 v31, 0xa00, v43
	;; [unrolled: 1-line block ×3, first 2 shown]
	ds_read2_b32 v[40:41], v32 offset0:108 offset1:199
	ds_read_b32 v42, v43 offset:4368
	ds_read2_b32 v[52:53], v34 offset0:34 offset1:125
	ds_read2_b32 v[56:57], v31 offset0:88 offset1:179
	;; [unrolled: 1-line block ×3, first 2 shown]
	s_waitcnt lgkmcnt(0)
	s_barrier
	buffer_gl0_inv
	s_mov_b32 s20, 0x43156c6a
	s_mov_b32 s21, 0x3f4bb2f6
	v_lshrrev_b32_e32 v54, 16, v37
	v_mul_f16_sdwa v61, v8, v37 dst_sel:DWORD dst_unused:UNUSED_PAD src0_sel:WORD_1 src1_sel:DWORD
	v_lshrrev_b32_e32 v62, 16, v38
	v_lshrrev_b32_e32 v63, 16, v39
	v_mul_f16_sdwa v72, v9, v38 dst_sel:DWORD dst_unused:UNUSED_PAD src0_sel:WORD_1 src1_sel:DWORD
	v_mul_f16_sdwa v71, v8, v54 dst_sel:DWORD dst_unused:UNUSED_PAD src0_sel:WORD_1 src1_sel:DWORD
	v_lshrrev_b32_e32 v64, 16, v40
	v_lshrrev_b32_e32 v65, 16, v41
	v_mul_f16_sdwa v74, v9, v62 dst_sel:DWORD dst_unused:UNUSED_PAD src0_sel:WORD_1 src1_sel:DWORD
	v_fma_f16 v54, v8, v54, -v61
	v_fmac_f16_e32 v71, v8, v37
	v_fma_f16 v37, v9, v62, -v72
	v_mul_f16_sdwa v61, v10, v63 dst_sel:DWORD dst_unused:UNUSED_PAD src0_sel:WORD_1 src1_sel:DWORD
	v_fmac_f16_e32 v74, v9, v38
	v_mul_f16_sdwa v38, v11, v64 dst_sel:DWORD dst_unused:UNUSED_PAD src0_sel:WORD_1 src1_sel:DWORD
	v_mul_f16_sdwa v9, v4, v65 dst_sel:DWORD dst_unused:UNUSED_PAD src0_sel:WORD_1 src1_sel:DWORD
	;; [unrolled: 1-line block ×4, first 2 shown]
	v_fmac_f16_e32 v61, v10, v39
	v_fmac_f16_e32 v38, v11, v40
	;; [unrolled: 1-line block ×3, first 2 shown]
	v_mul_f16_sdwa v39, v4, v41 dst_sel:DWORD dst_unused:UNUSED_PAD src0_sel:WORD_1 src1_sel:DWORD
	v_add_f16_e32 v40, v71, v36
	v_add_f16_sdwa v41, v54, v36 dst_sel:DWORD dst_unused:UNUSED_PAD src0_sel:DWORD src1_sel:WORD_1
	v_fma_f16 v10, v10, v63, -v8
	v_lshrrev_b32_e32 v66, 16, v52
	v_fma_f16 v11, v11, v64, -v62
	v_add_f16_e32 v40, v40, v74
	v_add_f16_e32 v41, v41, v37
	v_lshrrev_b32_e32 v67, 16, v53
	v_lshrrev_b32_e32 v68, 16, v56
	v_mul_f16_sdwa v8, v5, v66 dst_sel:DWORD dst_unused:UNUSED_PAD src0_sel:WORD_1 src1_sel:DWORD
	v_add_f16_e32 v40, v40, v61
	v_add_f16_e32 v41, v41, v10
	v_mul_f16_sdwa v62, v5, v52 dst_sel:DWORD dst_unused:UNUSED_PAD src0_sel:WORD_1 src1_sel:DWORD
	v_fma_f16 v39, v4, v65, -v39
	v_lshrrev_b32_e32 v69, 16, v57
	v_add_f16_e32 v40, v40, v38
	v_add_f16_e32 v41, v41, v11
	v_fmac_f16_e32 v8, v5, v52
	v_fma_f16 v5, v5, v66, -v62
	v_mul_f16_sdwa v4, v6, v67 dst_sel:DWORD dst_unused:UNUSED_PAD src0_sel:WORD_1 src1_sel:DWORD
	v_mul_f16_sdwa v52, v6, v53 dst_sel:DWORD dst_unused:UNUSED_PAD src0_sel:WORD_1 src1_sel:DWORD
	;; [unrolled: 1-line block ×3, first 2 shown]
	v_add_f16_e32 v40, v40, v9
	v_add_f16_e32 v41, v41, v39
	v_lshrrev_b32_e32 v70, 16, v58
	v_fmac_f16_e32 v4, v6, v53
	v_fma_f16 v6, v6, v67, -v52
	v_fmac_f16_e32 v62, v7, v56
	v_mul_f16_sdwa v52, v7, v56 dst_sel:DWORD dst_unused:UNUSED_PAD src0_sel:WORD_1 src1_sel:DWORD
	v_mul_f16_sdwa v53, v0, v69 dst_sel:DWORD dst_unused:UNUSED_PAD src0_sel:WORD_1 src1_sel:DWORD
	;; [unrolled: 1-line block ×3, first 2 shown]
	v_add_f16_e32 v40, v40, v8
	v_add_f16_e32 v41, v41, v5
	v_lshrrev_b32_e32 v73, 16, v59
	v_fma_f16 v7, v7, v68, -v52
	v_fmac_f16_e32 v53, v0, v57
	v_fma_f16 v52, v0, v69, -v56
	v_mul_f16_sdwa v56, v1, v70 dst_sel:DWORD dst_unused:UNUSED_PAD src0_sel:WORD_1 src1_sel:DWORD
	v_mul_f16_sdwa v0, v1, v58 dst_sel:DWORD dst_unused:UNUSED_PAD src0_sel:WORD_1 src1_sel:DWORD
	v_add_f16_e32 v40, v40, v4
	v_add_f16_e32 v41, v41, v6
	v_lshrrev_b32_e32 v60, 16, v42
	v_mul_f16_sdwa v57, v2, v73 dst_sel:DWORD dst_unused:UNUSED_PAD src0_sel:WORD_1 src1_sel:DWORD
	v_fmac_f16_e32 v56, v1, v58
	v_fma_f16 v1, v1, v70, -v0
	v_add_f16_e32 v0, v40, v62
	v_add_f16_e32 v40, v41, v7
	v_mul_f16_sdwa v41, v3, v42 dst_sel:DWORD dst_unused:UNUSED_PAD src0_sel:WORD_1 src1_sel:DWORD
	v_fmac_f16_e32 v57, v2, v59
	v_mul_f16_sdwa v58, v2, v59 dst_sel:DWORD dst_unused:UNUSED_PAD src0_sel:WORD_1 src1_sel:DWORD
	v_add_f16_e32 v0, v0, v53
	v_add_f16_e32 v40, v40, v52
	v_mul_f16_sdwa v59, v3, v60 dst_sel:DWORD dst_unused:UNUSED_PAD src0_sel:WORD_1 src1_sel:DWORD
	v_fma_f16 v41, v3, v60, -v41
	v_fma_f16 v2, v2, v73, -v58
	v_add_f16_e32 v0, v0, v56
	v_add_f16_e32 v40, v40, v1
	v_fmac_f16_e32 v59, v3, v42
	v_sub_f16_e32 v3, v54, v41
	v_add_f16_e32 v54, v54, v41
	v_add_f16_e32 v0, v0, v57
	v_add_f16_e32 v40, v40, v2
	v_add_f16_e32 v42, v71, v59
	v_mul_f16_e32 v58, 0xb770, v3
	v_sub_f16_e32 v81, v37, v2
	v_add_f16_e32 v0, v0, v59
	v_add_f16_sdwa v40, v40, v41 dst_sel:WORD_1 dst_unused:UNUSED_PAD src0_sel:DWORD src1_sel:DWORD
	v_sub_f16_e32 v41, v71, v59
	v_fmamk_f16 v59, v42, 0x3b15, v58
	v_mul_f16_e32 v60, 0x3b15, v54
	v_mul_f16_e32 v63, 0xba95, v3
	;; [unrolled: 1-line block ×11, first 2 shown]
	v_add_f16_e32 v83, v74, v57
	v_mul_f16_e32 v84, 0xba95, v81
	v_add_f16_e32 v2, v37, v2
	v_or_b32_sdwa v0, v40, v0 dst_sel:DWORD dst_unused:UNUSED_PAD src0_sel:DWORD src1_sel:WORD_0
	v_add_f16_e32 v40, v59, v36
	v_fmamk_f16 v59, v41, 0x3770, v60
	v_fma_f16 v58, v42, 0x3b15, -v58
	v_fmac_f16_e32 v60, 0xb770, v41
	v_fmamk_f16 v65, v42, 0x388b, v63
	v_fmamk_f16 v66, v41, 0x3a95, v64
	v_fma_f16 v63, v42, 0x388b, -v63
	v_fmac_f16_e32 v64, 0xba95, v41
	v_fmamk_f16 v68, v42, 0x2fb7, v67
	;; [unrolled: 4-line block ×5, first 2 shown]
	v_fmamk_f16 v82, v41, 0x33a8, v54
	v_fma_f16 v3, v42, 0xbbc4, -v3
	v_fmac_f16_e32 v54, 0xb3a8, v41
	v_sub_f16_e32 v37, v74, v57
	v_fmamk_f16 v41, v83, 0x388b, v84
	v_mul_f16_e32 v42, 0x388b, v2
	v_add_f16_sdwa v59, v59, v36 dst_sel:DWORD dst_unused:UNUSED_PAD src0_sel:DWORD src1_sel:WORD_1
	v_add_f16_e32 v58, v58, v36
	v_add_f16_sdwa v60, v60, v36 dst_sel:DWORD dst_unused:UNUSED_PAD src0_sel:DWORD src1_sel:WORD_1
	v_add_f16_e32 v65, v65, v36
	;; [unrolled: 2-line block ×12, first 2 shown]
	v_fmamk_f16 v41, v37, 0x3a95, v42
	v_mul_f16_e32 v54, 0xbb7b, v81
	v_fma_f16 v74, v83, 0x388b, -v84
	v_fmac_f16_e32 v42, 0xba95, v37
	v_mul_f16_e32 v82, 0xb5ac, v2
	v_add_f16_e32 v41, v41, v59
	v_fmamk_f16 v59, v83, 0xb5ac, v54
	v_add_f16_e32 v58, v74, v58
	v_add_f16_e32 v42, v42, v60
	v_fmamk_f16 v60, v37, 0x3b7b, v82
	v_mul_f16_e32 v74, 0xb3a8, v81
	v_fma_f16 v54, v83, 0xb5ac, -v54
	v_fmac_f16_e32 v82, 0xbb7b, v37
	v_add_f16_e32 v59, v59, v65
	v_add_f16_e32 v60, v60, v66
	v_fmamk_f16 v65, v83, 0xbbc4, v74
	v_mul_f16_e32 v66, 0xbbc4, v2
	v_add_f16_e32 v54, v54, v63
	v_add_f16_e32 v63, v82, v64
	v_mul_f16_e32 v64, 0x394e, v81
	v_add_f16_e32 v65, v65, v68
	v_fmamk_f16 v68, v37, 0x33a8, v66
	v_fmac_f16_e32 v66, 0xb3a8, v37
	v_mul_f16_e32 v84, 0xb9fd, v2
	v_fmamk_f16 v82, v83, 0xb9fd, v64
	v_fma_f16 v74, v83, 0xbbc4, -v74
	v_add_f16_e32 v68, v68, v71
	v_add_f16_e32 v66, v66, v69
	v_fmamk_f16 v71, v37, 0xb94e, v84
	v_add_f16_e32 v69, v82, v72
	v_mul_f16_e32 v72, 0x3bf1, v81
	v_add_f16_e32 v67, v74, v67
	v_fma_f16 v64, v83, 0xb9fd, -v64
	v_mul_f16_e32 v74, 0x2fb7, v2
	v_add_f16_e32 v71, v71, v75
	v_fmamk_f16 v75, v83, 0x2fb7, v72
	v_mul_f16_e32 v81, 0x3770, v81
	v_fma_f16 v72, v83, 0x2fb7, -v72
	v_add_f16_e32 v64, v64, v70
	v_fmamk_f16 v70, v37, 0xbbf1, v74
	v_add_f16_e32 v75, v75, v78
	v_fmac_f16_e32 v74, 0x3bf1, v37
	v_fmamk_f16 v78, v83, 0x3b15, v81
	v_add_f16_e32 v72, v72, v76
	v_sub_f16_e32 v76, v10, v1
	v_add_f16_e32 v70, v70, v79
	v_mul_f16_e32 v2, 0x3b15, v2
	v_add_f16_e32 v74, v74, v77
	v_add_f16_e32 v77, v78, v80
	;; [unrolled: 1-line block ×3, first 2 shown]
	v_mul_f16_e32 v80, 0xbbf1, v76
	v_add_f16_e32 v1, v10, v1
	v_fmac_f16_e32 v84, 0x394e, v37
	v_fmamk_f16 v78, v37, 0xb770, v2
	v_fma_f16 v10, v83, 0x3b15, -v81
	v_fmac_f16_e32 v2, 0x3770, v37
	v_sub_f16_e32 v37, v61, v56
	v_fmamk_f16 v56, v79, 0x2fb7, v80
	v_mul_f16_e32 v61, 0x2fb7, v1
	v_add_f16_e32 v57, v78, v57
	v_add_f16_e32 v3, v10, v3
	;; [unrolled: 1-line block ×4, first 2 shown]
	v_fmamk_f16 v36, v37, 0x3bf1, v61
	v_mul_f16_e32 v40, 0xb3a8, v76
	v_fma_f16 v56, v79, 0x2fb7, -v80
	v_fmac_f16_e32 v61, 0xbbf1, v37
	v_mul_f16_e32 v78, 0xbbc4, v1
	v_add_f16_e32 v36, v36, v41
	v_fmamk_f16 v41, v79, 0xbbc4, v40
	v_add_f16_e32 v56, v56, v58
	v_add_f16_e32 v42, v61, v42
	v_fmamk_f16 v58, v37, 0x33a8, v78
	v_mul_f16_e32 v61, 0x3b7b, v76
	v_fma_f16 v40, v79, 0xbbc4, -v40
	v_fmac_f16_e32 v78, 0xb3a8, v37
	v_add_f16_e32 v41, v41, v59
	v_add_f16_e32 v58, v58, v60
	v_fmamk_f16 v59, v79, 0xb5ac, v61
	v_mul_f16_e32 v60, 0xb5ac, v1
	v_add_f16_e32 v40, v40, v54
	v_add_f16_e32 v54, v78, v63
	v_mul_f16_e32 v63, 0x3770, v76
	v_add_f16_e32 v59, v59, v65
	v_fmamk_f16 v65, v37, 0xbb7b, v60
	v_fma_f16 v61, v79, 0xb5ac, -v61
	v_fmac_f16_e32 v60, 0x3b7b, v37
	v_fmamk_f16 v78, v79, 0x3b15, v63
	v_mul_f16_e32 v80, 0x3b15, v1
	v_add_f16_e32 v65, v65, v68
	v_add_f16_e32 v61, v61, v67
	;; [unrolled: 1-line block ×4, first 2 shown]
	v_fmamk_f16 v67, v37, 0xb770, v80
	v_mul_f16_e32 v68, 0xba95, v76
	v_fma_f16 v63, v79, 0x3b15, -v63
	v_mul_f16_e32 v69, 0x388b, v1
	v_mul_f16_e32 v76, 0xb94e, v76
	v_add_f16_e32 v67, v67, v71
	v_fmamk_f16 v71, v79, 0x388b, v68
	v_add_f16_e32 v63, v63, v64
	v_fmamk_f16 v64, v37, 0x3a95, v69
	v_fma_f16 v68, v79, 0x388b, -v68
	v_fmac_f16_e32 v69, 0xba95, v37
	v_add_f16_e32 v71, v71, v75
	v_mul_f16_e32 v1, 0xb9fd, v1
	v_add_f16_e32 v64, v64, v70
	v_fmamk_f16 v70, v79, 0xb9fd, v76
	v_add_f16_e32 v68, v68, v72
	v_sub_f16_e32 v72, v11, v52
	v_add_f16_e32 v75, v38, v53
	v_add_f16_e32 v11, v11, v52
	;; [unrolled: 1-line block ×3, first 2 shown]
	v_fmac_f16_e32 v80, 0x3770, v37
	v_mul_f16_e32 v77, 0xbb7b, v72
	v_add_f16_e32 v69, v69, v74
	v_fmamk_f16 v74, v37, 0x394e, v1
	v_fma_f16 v52, v79, 0xb9fd, -v76
	v_fmac_f16_e32 v1, 0xb94e, v37
	v_sub_f16_e32 v37, v38, v53
	v_fmamk_f16 v38, v75, 0xb5ac, v77
	v_mul_f16_e32 v53, 0xb5ac, v11
	v_add_f16_e32 v57, v74, v57
	v_add_f16_e32 v3, v52, v3
	;; [unrolled: 1-line block ×4, first 2 shown]
	v_fmamk_f16 v10, v37, 0x3b7b, v53
	v_mul_f16_e32 v38, 0x394e, v72
	v_fma_f16 v52, v75, 0xb5ac, -v77
	v_fmac_f16_e32 v53, 0xbb7b, v37
	v_mul_f16_e32 v74, 0xb9fd, v11
	v_add_f16_e32 v10, v10, v36
	v_fmamk_f16 v36, v75, 0xb9fd, v38
	v_add_f16_e32 v52, v52, v56
	v_add_f16_e32 v42, v53, v42
	v_fmamk_f16 v53, v37, 0xb94e, v74
	v_mul_f16_e32 v56, 0x3770, v72
	v_fma_f16 v38, v75, 0xb9fd, -v38
	v_fmac_f16_e32 v74, 0x394e, v37
	v_add_f16_e32 v36, v36, v41
	v_add_f16_e32 v41, v53, v58
	v_fmamk_f16 v53, v75, 0x3b15, v56
	v_mul_f16_e32 v58, 0x3b15, v11
	v_add_f16_e32 v38, v38, v40
	v_add_f16_e32 v40, v74, v54
	v_mul_f16_e32 v54, 0xbbf1, v72
	v_add_f16_e32 v53, v53, v59
	v_fmamk_f16 v59, v37, 0xb770, v58
	v_fma_f16 v56, v75, 0x3b15, -v56
	v_fmac_f16_e32 v58, 0x3770, v37
	v_fmamk_f16 v74, v75, 0x2fb7, v54
	v_mul_f16_e32 v76, 0x2fb7, v11
	v_add_f16_e32 v59, v59, v65
	v_add_f16_e32 v56, v56, v61
	;; [unrolled: 1-line block ×4, first 2 shown]
	v_fmamk_f16 v61, v37, 0x3bf1, v76
	v_mul_f16_e32 v65, 0x33a8, v72
	v_fma_f16 v54, v75, 0x2fb7, -v54
	v_mul_f16_e32 v66, 0xbbc4, v11
	v_mul_f16_e32 v72, 0x3a95, v72
	v_add_f16_e32 v61, v61, v67
	v_fmamk_f16 v67, v75, 0xbbc4, v65
	v_add_f16_e32 v54, v54, v63
	v_fmamk_f16 v63, v37, 0xb3a8, v66
	v_fma_f16 v65, v75, 0xbbc4, -v65
	v_fmac_f16_e32 v66, 0x33a8, v37
	v_add_f16_e32 v67, v67, v71
	v_mul_f16_e32 v11, 0x388b, v11
	v_add_f16_e32 v63, v63, v64
	v_fmamk_f16 v64, v75, 0x388b, v72
	v_add_f16_e32 v65, v65, v68
	v_sub_f16_e32 v68, v39, v7
	v_add_f16_e32 v7, v39, v7
	v_fmac_f16_e32 v76, 0xbbf1, v37
	v_add_f16_e32 v64, v64, v70
	v_add_f16_e32 v70, v9, v62
	v_mul_f16_e32 v71, 0xb94e, v68
	v_add_f16_e32 v66, v66, v69
	v_fmamk_f16 v69, v37, 0xba95, v11
	v_fmac_f16_e32 v11, 0x3a95, v37
	v_sub_f16_e32 v9, v9, v62
	v_fmamk_f16 v37, v70, 0xb9fd, v71
	v_mul_f16_e32 v62, 0xb9fd, v7
	v_fma_f16 v39, v75, 0x388b, -v72
	v_add_f16_e32 v1, v11, v1
	v_add_f16_e32 v57, v69, v57
	;; [unrolled: 1-line block ×3, first 2 shown]
	v_fmamk_f16 v11, v9, 0x394e, v62
	v_mul_f16_e32 v37, 0x3bf1, v68
	v_add_f16_e32 v3, v39, v3
	v_fma_f16 v39, v70, 0xb9fd, -v71
	v_fmac_f16_e32 v62, 0xb94e, v9
	v_mul_f16_e32 v69, 0x2fb7, v7
	v_add_f16_e32 v10, v11, v10
	v_fmamk_f16 v11, v70, 0x2fb7, v37
	v_add_f16_e32 v39, v39, v52
	v_add_f16_e32 v42, v62, v42
	v_fmamk_f16 v52, v9, 0xbbf1, v69
	v_mul_f16_e32 v62, 0xba95, v68
	v_add_f16_e32 v11, v11, v36
	v_fma_f16 v36, v70, 0x2fb7, -v37
	v_fmac_f16_e32 v69, 0x3bf1, v9
	v_add_f16_e32 v37, v52, v41
	v_fmamk_f16 v41, v70, 0x388b, v62
	v_mul_f16_e32 v52, 0x388b, v7
	v_add_f16_e32 v36, v36, v38
	v_add_f16_e32 v38, v69, v40
	v_mul_f16_e32 v40, 0x33a8, v68
	v_add_f16_e32 v41, v41, v53
	v_fmamk_f16 v53, v9, 0x3a95, v52
	v_fmac_f16_e32 v52, 0xba95, v9
	v_mul_f16_e32 v71, 0xbbc4, v7
	v_fmamk_f16 v69, v70, 0xbbc4, v40
	v_fma_f16 v62, v70, 0x388b, -v62
	v_add_f16_e32 v53, v53, v59
	v_add_f16_e32 v52, v52, v58
	v_fmamk_f16 v59, v9, 0xb3a8, v71
	v_add_f16_e32 v58, v69, v60
	v_mul_f16_e32 v60, 0x3770, v68
	v_add_f16_e32 v56, v62, v56
	v_fma_f16 v40, v70, 0xbbc4, -v40
	v_mul_f16_e32 v62, 0x3b15, v7
	v_add_f16_e32 v59, v59, v61
	v_fmamk_f16 v61, v70, 0x3b15, v60
	v_fma_f16 v60, v70, 0x3b15, -v60
	v_add_f16_e32 v40, v40, v54
	v_fmamk_f16 v54, v9, 0xb770, v62
	v_mul_f16_e32 v68, 0xbb7b, v68
	v_fmac_f16_e32 v62, 0x3770, v9
	v_add_f16_e32 v60, v60, v65
	v_sub_f16_e32 v65, v5, v6
	v_add_f16_e32 v61, v61, v67
	v_add_f16_e32 v54, v54, v63
	v_fmamk_f16 v63, v70, 0xb5ac, v68
	v_mul_f16_e32 v7, 0xb5ac, v7
	v_add_f16_e32 v62, v62, v66
	v_add_f16_e32 v66, v8, v4
	v_mul_f16_e32 v67, 0xb3a8, v65
	v_add_f16_e32 v5, v5, v6
	v_fmac_f16_e32 v71, 0x33a8, v9
	v_add_f16_e32 v63, v63, v64
	v_fmamk_f16 v64, v9, 0x3b7b, v7
	v_fma_f16 v6, v70, 0xb5ac, -v68
	v_fmac_f16_e32 v7, 0xbb7b, v9
	v_sub_f16_e32 v4, v8, v4
	v_fmamk_f16 v8, v66, 0xbbc4, v67
	v_mul_f16_e32 v9, 0xbbc4, v5
	v_add_f16_e32 v57, v64, v57
	v_add_f16_e32 v3, v6, v3
	;; [unrolled: 1-line block ×4, first 2 shown]
	v_fmamk_f16 v6, v4, 0x33a8, v9
	v_mul_f16_e32 v7, 0x3770, v65
	v_fma_f16 v8, v66, 0xbbc4, -v67
	v_fmac_f16_e32 v9, 0xb3a8, v4
	v_mul_f16_e32 v64, 0x3b15, v5
	v_add_f16_e32 v6, v6, v10
	v_fmamk_f16 v10, v66, 0x3b15, v7
	v_add_f16_e32 v8, v8, v39
	v_add_f16_e32 v9, v9, v42
	v_fmamk_f16 v39, v4, 0xb770, v64
	v_mul_f16_e32 v42, 0xb94e, v65
	v_add_f16_e32 v10, v10, v11
	v_fma_f16 v7, v66, 0x3b15, -v7
	v_fmac_f16_e32 v64, 0x3770, v4
	v_add_f16_e32 v11, v39, v37
	v_fmamk_f16 v37, v66, 0xb9fd, v42
	v_mul_f16_e32 v39, 0xb9fd, v5
	v_add_f16_e32 v7, v7, v36
	v_add_f16_e32 v36, v64, v38
	v_mul_f16_e32 v38, 0x3a95, v65
	v_add_f16_e32 v37, v37, v41
	v_fmamk_f16 v41, v4, 0x394e, v39
	v_fma_f16 v42, v66, 0xb9fd, -v42
	v_mul_f16_e32 v67, 0x388b, v5
	v_fmac_f16_e32 v39, 0xb94e, v4
	v_fmamk_f16 v64, v66, 0x388b, v38
	v_add_f16_e32 v41, v41, v53
	v_add_f16_e32 v42, v42, v56
	v_fmamk_f16 v53, v4, 0xba95, v67
	v_mul_f16_e32 v56, 0xbb7b, v65
	v_add_f16_e32 v73, v84, v73
	v_add_f16_e32 v39, v39, v52
	;; [unrolled: 1-line block ×3, first 2 shown]
	v_mul_f16_e32 v58, 0xb5ac, v5
	v_add_f16_e32 v53, v53, v59
	v_fmamk_f16 v59, v66, 0xb5ac, v56
	v_add_f16_e32 v73, v80, v73
	v_fma_f16 v56, v66, 0xb5ac, -v56
	v_fmamk_f16 v64, v4, 0x3b7b, v58
	v_mul_f16_e32 v5, 0x2fb7, v5
	v_add_f16_e32 v59, v59, v61
	v_mul_f16_e32 v61, 0x3bf1, v65
	v_add_f16_e32 v73, v76, v73
	v_add_f16_e32 v54, v64, v54
	;; [unrolled: 1-line block ×3, first 2 shown]
	v_fmac_f16_e32 v58, 0xbb7b, v4
	v_fmamk_f16 v60, v66, 0x2fb7, v61
	v_fmamk_f16 v64, v4, 0xbbf1, v5
	v_fma_f16 v61, v66, 0x2fb7, -v61
	v_fmac_f16_e32 v5, 0x3bf1, v4
	v_add_f16_e32 v69, v71, v73
	v_fma_f16 v38, v66, 0x388b, -v38
	v_fmac_f16_e32 v67, 0x3a95, v4
	v_pack_b32_f16 v2, v2, v6
	v_add_f16_e32 v4, v58, v62
	v_add_f16_e32 v58, v60, v63
	;; [unrolled: 1-line block ×5, first 2 shown]
	v_pack_b32_f16 v5, v10, v11
	v_pack_b32_f16 v6, v37, v41
	v_add_f16_e32 v38, v38, v40
	v_add_f16_e32 v40, v67, v69
	ds_write2_b32 v55, v0, v2 offset1:7
	ds_write2_b32 v55, v5, v6 offset0:14 offset1:21
	v_pack_b32_f16 v0, v52, v53
	v_pack_b32_f16 v2, v59, v54
	;; [unrolled: 1-line block ×9, first 2 shown]
	ds_write2_b32 v55, v0, v2 offset0:28 offset1:35
	ds_write2_b32 v55, v5, v1 offset0:42 offset1:49
	;; [unrolled: 1-line block ×4, first 2 shown]
	ds_write_b32 v55, v8 offset:336
	s_waitcnt lgkmcnt(0)
	s_barrier
	buffer_gl0_inv
	ds_read2_b32 v[6:7], v43 offset1:91
	ds_read2_b32 v[0:1], v33 offset0:54 offset1:145
	ds_read2_b32 v[2:3], v32 offset0:108 offset1:199
	;; [unrolled: 1-line block ×5, first 2 shown]
	ds_read_b32 v38, v43 offset:4368
	s_waitcnt lgkmcnt(6)
	v_lshrrev_b32_e32 v4, 16, v7
	s_waitcnt lgkmcnt(5)
	v_lshrrev_b32_e32 v5, 16, v0
	v_lshrrev_b32_e32 v39, 16, v1
	s_waitcnt lgkmcnt(4)
	v_lshrrev_b32_e32 v40, 16, v2
	v_lshrrev_b32_e32 v41, 16, v3
	v_mul_f16_sdwa v57, v20, v4 dst_sel:DWORD dst_unused:UNUSED_PAD src0_sel:WORD_1 src1_sel:DWORD
	v_mul_f16_sdwa v58, v20, v7 dst_sel:DWORD dst_unused:UNUSED_PAD src0_sel:WORD_1 src1_sel:DWORD
	;; [unrolled: 1-line block ×4, first 2 shown]
	s_waitcnt lgkmcnt(3)
	v_lshrrev_b32_e32 v42, 16, v8
	v_fmac_f16_e32 v57, v20, v7
	v_fma_f16 v7, v20, v4, -v58
	v_fmac_f16_e32 v59, v21, v0
	v_fma_f16 v20, v21, v5, -v60
	v_mul_f16_sdwa v21, v22, v39 dst_sel:DWORD dst_unused:UNUSED_PAD src0_sel:WORD_1 src1_sel:DWORD
	v_mul_f16_sdwa v0, v22, v1 dst_sel:DWORD dst_unused:UNUSED_PAD src0_sel:WORD_1 src1_sel:DWORD
	v_mul_f16_sdwa v58, v23, v40 dst_sel:DWORD dst_unused:UNUSED_PAD src0_sel:WORD_1 src1_sel:DWORD
	v_mul_f16_sdwa v5, v16, v41 dst_sel:DWORD dst_unused:UNUSED_PAD src0_sel:WORD_1 src1_sel:DWORD
	v_mul_f16_sdwa v4, v23, v2 dst_sel:DWORD dst_unused:UNUSED_PAD src0_sel:WORD_1 src1_sel:DWORD
	v_fmac_f16_e32 v21, v22, v1
	v_fma_f16 v22, v22, v39, -v0
	v_fmac_f16_e32 v58, v23, v2
	v_fmac_f16_e32 v5, v16, v3
	v_mul_f16_sdwa v0, v16, v3 dst_sel:DWORD dst_unused:UNUSED_PAD src0_sel:WORD_1 src1_sel:DWORD
	v_mul_f16_sdwa v1, v17, v42 dst_sel:DWORD dst_unused:UNUSED_PAD src0_sel:WORD_1 src1_sel:DWORD
	v_add_f16_e32 v2, v57, v6
	v_add_f16_sdwa v3, v7, v6 dst_sel:DWORD dst_unused:UNUSED_PAD src0_sel:DWORD src1_sel:WORD_1
	v_fma_f16 v23, v23, v40, -v4
	v_mul_f16_sdwa v4, v17, v8 dst_sel:DWORD dst_unused:UNUSED_PAD src0_sel:WORD_1 src1_sel:DWORD
	v_fma_f16 v16, v16, v41, -v0
	v_fmac_f16_e32 v1, v17, v8
	v_add_f16_e32 v0, v2, v59
	v_add_f16_e32 v8, v3, v20
	v_lshrrev_b32_e32 v52, 16, v9
	s_waitcnt lgkmcnt(2)
	v_lshrrev_b32_e32 v53, 16, v10
	v_lshrrev_b32_e32 v54, 16, v11
	v_add_f16_e32 v0, v0, v21
	v_add_f16_e32 v8, v8, v22
	v_fma_f16 v3, v17, v42, -v4
	v_mul_f16_sdwa v2, v18, v52 dst_sel:DWORD dst_unused:UNUSED_PAD src0_sel:WORD_1 src1_sel:DWORD
	v_mul_f16_sdwa v4, v18, v9 dst_sel:DWORD dst_unused:UNUSED_PAD src0_sel:WORD_1 src1_sel:DWORD
	v_add_f16_e32 v0, v0, v58
	v_add_f16_e32 v8, v8, v23
	v_mul_f16_sdwa v17, v19, v53 dst_sel:DWORD dst_unused:UNUSED_PAD src0_sel:WORD_1 src1_sel:DWORD
	s_waitcnt lgkmcnt(1)
	v_lshrrev_b32_e32 v55, 16, v36
	v_fmac_f16_e32 v2, v18, v9
	v_add_f16_e32 v0, v0, v5
	v_add_f16_e32 v8, v8, v16
	v_fma_f16 v4, v18, v52, -v4
	v_fmac_f16_e32 v17, v19, v10
	v_mul_f16_sdwa v9, v19, v10 dst_sel:DWORD dst_unused:UNUSED_PAD src0_sel:WORD_1 src1_sel:DWORD
	v_mul_f16_sdwa v10, v12, v54 dst_sel:DWORD dst_unused:UNUSED_PAD src0_sel:WORD_1 src1_sel:DWORD
	;; [unrolled: 1-line block ×3, first 2 shown]
	v_add_f16_e32 v0, v0, v1
	v_add_f16_e32 v8, v8, v3
	v_lshrrev_b32_e32 v56, 16, v37
	v_fma_f16 v9, v19, v53, -v9
	v_fmac_f16_e32 v10, v12, v11
	v_fma_f16 v11, v12, v54, -v18
	v_mul_f16_sdwa v12, v13, v55 dst_sel:DWORD dst_unused:UNUSED_PAD src0_sel:WORD_1 src1_sel:DWORD
	v_mul_f16_sdwa v18, v13, v36 dst_sel:DWORD dst_unused:UNUSED_PAD src0_sel:WORD_1 src1_sel:DWORD
	v_add_f16_e32 v0, v0, v2
	v_add_f16_e32 v8, v8, v4
	s_waitcnt lgkmcnt(0)
	v_lshrrev_b32_e32 v61, 16, v38
	v_mul_f16_sdwa v19, v14, v56 dst_sel:DWORD dst_unused:UNUSED_PAD src0_sel:WORD_1 src1_sel:DWORD
	v_fmac_f16_e32 v12, v13, v36
	v_fma_f16 v13, v13, v55, -v18
	v_add_f16_e32 v0, v0, v17
	v_add_f16_e32 v8, v8, v9
	v_mul_f16_sdwa v18, v15, v38 dst_sel:DWORD dst_unused:UNUSED_PAD src0_sel:WORD_1 src1_sel:DWORD
	v_fmac_f16_e32 v19, v14, v37
	v_mul_f16_sdwa v36, v14, v37 dst_sel:DWORD dst_unused:UNUSED_PAD src0_sel:WORD_1 src1_sel:DWORD
	v_add_f16_e32 v0, v0, v10
	v_add_f16_e32 v8, v8, v11
	v_mul_f16_sdwa v37, v15, v61 dst_sel:DWORD dst_unused:UNUSED_PAD src0_sel:WORD_1 src1_sel:DWORD
	v_fma_f16 v18, v15, v61, -v18
	v_fma_f16 v14, v14, v56, -v36
	v_add_f16_e32 v0, v0, v12
	v_add_f16_e32 v8, v8, v13
	v_fmac_f16_e32 v37, v15, v38
	v_sub_f16_e32 v15, v7, v18
	v_add_f16_e32 v7, v7, v18
	v_add_f16_e32 v0, v0, v19
	;; [unrolled: 1-line block ×4, first 2 shown]
	v_mul_f16_e32 v38, 0xb770, v15
	v_sub_f16_e32 v68, v20, v14
	v_add_f16_e32 v0, v0, v37
	v_add_f16_sdwa v8, v8, v18 dst_sel:WORD_1 dst_unused:UNUSED_PAD src0_sel:DWORD src1_sel:DWORD
	v_sub_f16_e32 v18, v57, v37
	v_fmamk_f16 v37, v36, 0x3b15, v38
	v_mul_f16_e32 v39, 0x3b15, v7
	v_mul_f16_e32 v40, 0xba95, v15
	;; [unrolled: 1-line block ×11, first 2 shown]
	v_add_f16_e32 v70, v59, v19
	v_mul_f16_e32 v71, 0xba95, v68
	v_add_f16_e32 v14, v20, v14
	v_or_b32_sdwa v0, v8, v0 dst_sel:DWORD dst_unused:UNUSED_PAD src0_sel:DWORD src1_sel:WORD_0
	v_add_f16_e32 v8, v37, v6
	v_fmamk_f16 v37, v18, 0x3770, v39
	v_fma_f16 v38, v36, 0x3b15, -v38
	v_fmac_f16_e32 v39, 0xb770, v18
	v_fmamk_f16 v42, v36, 0x388b, v40
	v_fmamk_f16 v52, v18, 0x3a95, v41
	v_fma_f16 v40, v36, 0x388b, -v40
	v_fmac_f16_e32 v41, 0xba95, v18
	v_fmamk_f16 v54, v36, 0x2fb7, v53
	;; [unrolled: 4-line block ×5, first 2 shown]
	v_fmamk_f16 v69, v18, 0x33a8, v7
	v_fma_f16 v15, v36, 0xbbc4, -v15
	v_fmac_f16_e32 v7, 0xb3a8, v18
	v_sub_f16_e32 v18, v59, v19
	v_fmamk_f16 v19, v70, 0x388b, v71
	v_mul_f16_e32 v20, 0x388b, v14
	v_add_f16_sdwa v37, v37, v6 dst_sel:DWORD dst_unused:UNUSED_PAD src0_sel:DWORD src1_sel:WORD_1
	v_add_f16_e32 v38, v38, v6
	v_add_f16_sdwa v39, v39, v6 dst_sel:DWORD dst_unused:UNUSED_PAD src0_sel:DWORD src1_sel:WORD_1
	v_add_f16_e32 v42, v42, v6
	;; [unrolled: 2-line block ×12, first 2 shown]
	v_fmamk_f16 v8, v18, 0x3a95, v20
	v_mul_f16_e32 v19, 0xbb7b, v68
	v_fma_f16 v59, v70, 0x388b, -v71
	v_fmac_f16_e32 v20, 0xba95, v18
	v_mul_f16_e32 v69, 0xb5ac, v14
	v_add_f16_e32 v8, v8, v37
	v_fmamk_f16 v37, v70, 0xb5ac, v19
	v_add_f16_e32 v38, v59, v38
	v_add_f16_e32 v20, v20, v39
	v_fmamk_f16 v39, v18, 0x3b7b, v69
	v_mul_f16_e32 v59, 0xb3a8, v68
	v_add_f16_e32 v37, v37, v42
	v_fma_f16 v19, v70, 0xb5ac, -v19
	v_fmac_f16_e32 v69, 0xbb7b, v18
	v_add_f16_e32 v39, v39, v52
	v_fmamk_f16 v42, v70, 0xbbc4, v59
	v_mul_f16_e32 v52, 0xbbc4, v14
	v_add_f16_e32 v19, v19, v40
	v_add_f16_e32 v40, v69, v41
	v_mul_f16_e32 v41, 0x394e, v68
	v_add_f16_e32 v42, v42, v54
	v_fmamk_f16 v54, v18, 0x33a8, v52
	v_fma_f16 v59, v70, 0xbbc4, -v59
	v_mul_f16_e32 v71, 0xb9fd, v14
	v_fmac_f16_e32 v52, 0xb3a8, v18
	v_fmamk_f16 v69, v70, 0xb9fd, v41
	v_add_f16_e32 v54, v54, v57
	v_add_f16_e32 v53, v59, v53
	v_fmamk_f16 v57, v18, 0xb94e, v71
	v_mul_f16_e32 v59, 0x3bf1, v68
	v_add_f16_e32 v52, v52, v55
	v_add_f16_e32 v55, v69, v60
	v_fma_f16 v41, v70, 0xb9fd, -v41
	v_mul_f16_e32 v60, 0x2fb7, v14
	v_add_f16_e32 v57, v57, v62
	v_fmamk_f16 v62, v70, 0x2fb7, v59
	v_mul_f16_e32 v68, 0x3770, v68
	v_fma_f16 v59, v70, 0x2fb7, -v59
	v_add_f16_e32 v41, v41, v56
	v_fmamk_f16 v56, v18, 0xbbf1, v60
	v_add_f16_e32 v62, v62, v65
	v_fmac_f16_e32 v60, 0x3bf1, v18
	v_fmamk_f16 v65, v70, 0x3b15, v68
	v_add_f16_e32 v59, v59, v63
	v_sub_f16_e32 v63, v22, v13
	v_add_f16_e32 v56, v56, v66
	v_mul_f16_e32 v14, 0x3b15, v14
	v_add_f16_e32 v60, v60, v64
	v_add_f16_e32 v64, v65, v67
	;; [unrolled: 1-line block ×3, first 2 shown]
	v_mul_f16_e32 v67, 0xbbf1, v63
	v_add_f16_e32 v13, v22, v13
	v_fmac_f16_e32 v71, 0x394e, v18
	v_fmamk_f16 v65, v18, 0xb770, v14
	v_fma_f16 v22, v70, 0x3b15, -v68
	v_fmac_f16_e32 v14, 0x3770, v18
	v_sub_f16_e32 v12, v21, v12
	v_fmamk_f16 v18, v66, 0x2fb7, v67
	v_mul_f16_e32 v21, 0x2fb7, v13
	v_add_f16_e32 v36, v65, v36
	v_add_f16_e32 v15, v22, v15
	;; [unrolled: 1-line block ×4, first 2 shown]
	v_fmamk_f16 v14, v12, 0x3bf1, v21
	v_mul_f16_e32 v18, 0xb3a8, v63
	v_fma_f16 v22, v66, 0x2fb7, -v67
	v_fmac_f16_e32 v21, 0xbbf1, v12
	v_mul_f16_e32 v65, 0xbbc4, v13
	v_add_f16_e32 v8, v14, v8
	v_fmamk_f16 v14, v66, 0xbbc4, v18
	v_add_f16_e32 v22, v22, v38
	v_add_f16_e32 v20, v21, v20
	v_fmamk_f16 v21, v12, 0x33a8, v65
	v_mul_f16_e32 v38, 0x3b7b, v63
	v_fma_f16 v18, v66, 0xbbc4, -v18
	v_fmac_f16_e32 v65, 0xb3a8, v12
	v_add_f16_e32 v14, v14, v37
	v_add_f16_e32 v21, v21, v39
	v_fmamk_f16 v37, v66, 0xb5ac, v38
	v_mul_f16_e32 v39, 0xb5ac, v13
	v_add_f16_e32 v18, v18, v19
	v_add_f16_e32 v19, v65, v40
	v_mul_f16_e32 v40, 0x3770, v63
	v_add_f16_e32 v37, v37, v42
	v_fmamk_f16 v42, v12, 0xbb7b, v39
	v_fma_f16 v38, v66, 0xb5ac, -v38
	v_fmac_f16_e32 v39, 0x3b7b, v12
	v_fmamk_f16 v65, v66, 0x3b15, v40
	v_mul_f16_e32 v67, 0x3b15, v13
	v_add_f16_e32 v42, v42, v54
	v_add_f16_e32 v38, v38, v53
	;; [unrolled: 1-line block ×4, first 2 shown]
	v_fmamk_f16 v53, v12, 0xb770, v67
	v_mul_f16_e32 v54, 0xba95, v63
	v_fma_f16 v40, v66, 0x3b15, -v40
	v_mul_f16_e32 v55, 0x388b, v13
	v_mul_f16_e32 v63, 0xb94e, v63
	v_add_f16_e32 v53, v53, v57
	v_fmamk_f16 v57, v66, 0x388b, v54
	v_add_f16_e32 v40, v40, v41
	v_fmamk_f16 v41, v12, 0x3a95, v55
	v_fma_f16 v54, v66, 0x388b, -v54
	v_fmac_f16_e32 v55, 0xba95, v12
	v_add_f16_e32 v57, v57, v62
	v_mul_f16_e32 v13, 0xb9fd, v13
	v_add_f16_e32 v41, v41, v56
	v_fmamk_f16 v56, v66, 0xb9fd, v63
	v_add_f16_e32 v54, v54, v59
	v_sub_f16_e32 v59, v23, v11
	v_add_f16_e32 v62, v58, v10
	v_add_f16_e32 v11, v23, v11
	;; [unrolled: 1-line block ×3, first 2 shown]
	v_fmac_f16_e32 v67, 0x3770, v12
	v_mul_f16_e32 v64, 0xbb7b, v59
	v_add_f16_e32 v55, v55, v60
	v_fmamk_f16 v60, v12, 0x394e, v13
	v_fma_f16 v23, v66, 0xb9fd, -v63
	v_fmac_f16_e32 v13, 0xb94e, v12
	v_sub_f16_e32 v10, v58, v10
	v_fmamk_f16 v12, v62, 0xb5ac, v64
	v_mul_f16_e32 v58, 0xb5ac, v11
	v_add_f16_e32 v36, v60, v36
	v_add_f16_e32 v15, v23, v15
	;; [unrolled: 1-line block ×4, first 2 shown]
	v_fmamk_f16 v12, v10, 0x3b7b, v58
	v_mul_f16_e32 v13, 0x394e, v59
	v_fma_f16 v23, v62, 0xb5ac, -v64
	v_fmac_f16_e32 v58, 0xbb7b, v10
	v_mul_f16_e32 v60, 0xb9fd, v11
	v_add_f16_e32 v8, v12, v8
	v_fmamk_f16 v12, v62, 0xb9fd, v13
	v_add_f16_e32 v22, v23, v22
	v_add_f16_e32 v20, v58, v20
	v_fmamk_f16 v23, v10, 0xb94e, v60
	v_mul_f16_e32 v58, 0x3770, v59
	v_fma_f16 v13, v62, 0xb9fd, -v13
	v_fmac_f16_e32 v60, 0x394e, v10
	v_add_f16_e32 v12, v12, v14
	v_add_f16_e32 v14, v23, v21
	v_fmamk_f16 v21, v62, 0x3b15, v58
	v_mul_f16_e32 v23, 0x3b15, v11
	v_add_f16_e32 v13, v13, v18
	v_add_f16_e32 v18, v60, v19
	v_mul_f16_e32 v19, 0xbbf1, v59
	v_add_f16_e32 v21, v21, v37
	v_fmamk_f16 v37, v10, 0xb770, v23
	v_fma_f16 v58, v62, 0x3b15, -v58
	v_fmac_f16_e32 v23, 0x3770, v10
	v_fmamk_f16 v60, v62, 0x2fb7, v19
	v_mul_f16_e32 v63, 0x2fb7, v11
	v_add_f16_e32 v37, v37, v42
	v_add_f16_e32 v38, v58, v38
	;; [unrolled: 1-line block ×4, first 2 shown]
	v_fmamk_f16 v42, v10, 0x3bf1, v63
	v_mul_f16_e32 v52, 0x33a8, v59
	v_mul_f16_e32 v58, 0xbbc4, v11
	;; [unrolled: 1-line block ×4, first 2 shown]
	v_add_f16_e32 v42, v42, v53
	v_fmamk_f16 v53, v62, 0xbbc4, v52
	v_fmamk_f16 v60, v10, 0xb3a8, v58
	v_fma_f16 v52, v62, 0xbbc4, -v52
	v_fmac_f16_e32 v58, 0x33a8, v10
	v_fmac_f16_e32 v63, 0xbbf1, v10
	v_add_f16_e32 v53, v53, v57
	v_fmamk_f16 v57, v62, 0x388b, v59
	v_add_f16_e32 v52, v52, v54
	v_add_f16_e32 v54, v58, v55
	v_sub_f16_e32 v55, v16, v9
	v_add_f16_e32 v9, v16, v9
	v_add_f16_e32 v56, v57, v56
	v_fmamk_f16 v57, v10, 0xba95, v11
	v_add_f16_e32 v58, v5, v17
	v_mul_f16_e32 v16, 0xb94e, v55
	v_fmac_f16_e32 v11, 0x3a95, v10
	v_sub_f16_e32 v5, v5, v17
	v_mul_f16_e32 v10, 0xb9fd, v9
	v_add_f16_e32 v36, v57, v36
	v_fmamk_f16 v17, v58, 0xb9fd, v16
	v_add_f16_e32 v6, v11, v6
	v_fma_f16 v16, v58, 0xb9fd, -v16
	v_fmamk_f16 v11, v5, 0x394e, v10
	v_fmac_f16_e32 v10, 0xb94e, v5
	v_add_f16_e32 v7, v17, v7
	v_mul_f16_e32 v17, 0x3bf1, v55
	v_add_f16_e32 v16, v16, v22
	v_add_f16_e32 v8, v11, v8
	v_mul_f16_e32 v11, 0x2fb7, v9
	v_add_f16_e32 v10, v10, v20
	v_fmamk_f16 v57, v58, 0x2fb7, v17
	v_mul_f16_e32 v20, 0xba95, v55
	v_add_f16_e32 v61, v71, v61
	v_fmamk_f16 v22, v5, 0xbbf1, v11
	v_fma_f16 v17, v58, 0x2fb7, -v17
	v_add_f16_e32 v12, v57, v12
	v_fmac_f16_e32 v11, 0x3bf1, v5
	v_fmamk_f16 v57, v58, 0x388b, v20
	v_add_f16_e32 v14, v22, v14
	v_mul_f16_e32 v22, 0x388b, v9
	v_add_f16_e32 v61, v67, v61
	v_fma_f16 v19, v62, 0x2fb7, -v19
	v_fma_f16 v59, v62, 0x388b, -v59
	v_add_f16_e32 v13, v17, v13
	v_add_f16_e32 v11, v11, v18
	;; [unrolled: 1-line block ×3, first 2 shown]
	v_mul_f16_e32 v18, 0x33a8, v55
	v_fmamk_f16 v21, v5, 0x3a95, v22
	v_fma_f16 v20, v58, 0x388b, -v20
	v_fmac_f16_e32 v22, 0xba95, v5
	v_mul_f16_e32 v57, 0xbbc4, v9
	v_add_f16_e32 v19, v19, v40
	v_add_f16_e32 v40, v63, v61
	;; [unrolled: 1-line block ×3, first 2 shown]
	v_fmamk_f16 v59, v58, 0xbbc4, v18
	v_add_f16_e32 v20, v20, v38
	v_add_f16_e32 v22, v22, v23
	v_fmamk_f16 v23, v5, 0xb3a8, v57
	v_mul_f16_e32 v38, 0x3770, v55
	v_fma_f16 v18, v58, 0xbbc4, -v18
	v_fmac_f16_e32 v57, 0x33a8, v5
	v_add_f16_e32 v21, v21, v37
	v_add_f16_e32 v23, v23, v42
	v_fmamk_f16 v42, v58, 0x3b15, v38
	v_add_f16_e32 v18, v18, v19
	v_add_f16_e32 v19, v57, v40
	v_mul_f16_e32 v40, 0xbb7b, v55
	v_add_f16_e32 v37, v59, v39
	v_mul_f16_e32 v39, 0x3b15, v9
	v_add_f16_e32 v42, v42, v53
	v_fma_f16 v38, v58, 0x3b15, -v38
	v_fmamk_f16 v53, v58, 0xb5ac, v40
	v_add_f16_e32 v41, v60, v41
	v_fmamk_f16 v55, v5, 0xb770, v39
	v_fmac_f16_e32 v39, 0x3770, v5
	v_mul_f16_e32 v9, 0xb5ac, v9
	v_add_f16_e32 v38, v38, v52
	v_add_f16_e32 v52, v53, v56
	v_sub_f16_e32 v53, v3, v4
	v_add_f16_e32 v3, v3, v4
	v_add_f16_e32 v41, v55, v41
	;; [unrolled: 1-line block ×3, first 2 shown]
	v_fmamk_f16 v54, v5, 0x3b7b, v9
	v_fma_f16 v40, v58, 0xb5ac, -v40
	v_add_f16_e32 v4, v1, v2
	v_mul_f16_e32 v55, 0xb3a8, v53
	v_fmac_f16_e32 v9, 0xbb7b, v5
	v_sub_f16_e32 v1, v1, v2
	v_mul_f16_e32 v2, 0xbbc4, v3
	v_add_f16_e32 v5, v54, v36
	v_fmamk_f16 v36, v4, 0xbbc4, v55
	v_add_f16_e32 v15, v40, v15
	v_add_f16_e32 v6, v9, v6
	v_fmamk_f16 v9, v1, 0x33a8, v2
	v_mul_f16_e32 v40, 0x3770, v53
	v_fmac_f16_e32 v2, 0xb3a8, v1
	v_add_f16_e32 v7, v36, v7
	v_fma_f16 v36, v4, 0xbbc4, -v55
	v_add_f16_e32 v8, v9, v8
	v_fmamk_f16 v9, v4, 0x3b15, v40
	v_mul_f16_e32 v54, 0x3b15, v3
	v_add_f16_e32 v2, v2, v10
	v_mul_f16_e32 v10, 0xb94e, v53
	v_add_f16_e32 v16, v36, v16
	v_add_f16_e32 v9, v9, v12
	v_fmamk_f16 v12, v1, 0xb770, v54
	v_fma_f16 v36, v4, 0x3b15, -v40
	v_fmamk_f16 v40, v4, 0xb9fd, v10
	v_mul_f16_e32 v55, 0xb9fd, v3
	v_fmac_f16_e32 v54, 0x3770, v1
	v_add_f16_e32 v12, v12, v14
	v_add_f16_e32 v13, v36, v13
	;; [unrolled: 1-line block ×3, first 2 shown]
	v_fmamk_f16 v17, v1, 0x394e, v55
	v_mul_f16_e32 v36, 0x3a95, v53
	v_fma_f16 v10, v4, 0xb9fd, -v10
	v_fmac_f16_e32 v55, 0xb94e, v1
	v_mul_f16_e32 v40, 0x388b, v3
	v_add_f16_e32 v17, v17, v21
	v_fmamk_f16 v21, v4, 0x388b, v36
	v_add_f16_e32 v11, v54, v11
	v_add_f16_e32 v10, v10, v20
	;; [unrolled: 1-line block ×3, first 2 shown]
	v_fmamk_f16 v22, v1, 0xba95, v40
	v_mul_f16_e32 v54, 0xbb7b, v53
	v_add_f16_e32 v21, v21, v37
	v_fma_f16 v36, v4, 0x388b, -v36
	v_fmac_f16_e32 v40, 0x3a95, v1
	v_mul_f16_e32 v37, 0xb5ac, v3
	v_add_f16_e32 v22, v22, v23
	v_fmamk_f16 v23, v4, 0xb5ac, v54
	v_add_f16_e32 v18, v36, v18
	v_add_f16_e32 v19, v40, v19
	v_mul_f16_e32 v36, 0x3bf1, v53
	v_fmamk_f16 v40, v1, 0x3b7b, v37
	v_mul_f16_e32 v3, 0x2fb7, v3
	v_add_f16_e32 v23, v23, v42
	v_fma_f16 v42, v4, 0xb5ac, -v54
	v_fmac_f16_e32 v37, 0xbb7b, v1
	v_fmamk_f16 v53, v4, 0x2fb7, v36
	v_add_f16_e32 v40, v40, v41
	v_fmamk_f16 v41, v1, 0xbbf1, v3
	v_fma_f16 v4, v4, 0x2fb7, -v36
	v_fmac_f16_e32 v3, 0x3bf1, v1
	v_pack_b32_f16 v1, v7, v8
	v_add_f16_e32 v37, v37, v39
	v_add_f16_e32 v39, v53, v52
	v_pack_b32_f16 v7, v9, v12
	v_pack_b32_f16 v8, v14, v17
	v_add_f16_e32 v5, v41, v5
	v_add_f16_e32 v4, v4, v15
	;; [unrolled: 1-line block ×4, first 2 shown]
	ds_write2_b32 v43, v0, v1 offset1:91
	ds_write2_b32 v33, v7, v8 offset0:54 offset1:145
	v_pack_b32_f16 v0, v21, v22
	v_pack_b32_f16 v1, v23, v40
	;; [unrolled: 1-line block ×9, first 2 shown]
	ds_write2_b32 v32, v0, v1 offset0:108 offset1:199
	ds_write2_b32 v34, v5, v3 offset0:34 offset1:125
	;; [unrolled: 1-line block ×4, first 2 shown]
	ds_write_b32 v43, v2 offset:4368
	s_waitcnt lgkmcnt(0)
	s_barrier
	buffer_gl0_inv
	ds_read2_b32 v[0:1], v43 offset1:169
	s_waitcnt lgkmcnt(0)
	v_lshrrev_b32_e32 v4, 16, v0
	v_lshrrev_b32_e32 v11, 16, v1
	v_mul_f16_sdwa v2, v51, v4 dst_sel:DWORD dst_unused:UNUSED_PAD src0_sel:WORD_1 src1_sel:DWORD
	v_fmac_f16_e32 v2, v51, v0
	v_mul_f16_sdwa v0, v51, v0 dst_sel:DWORD dst_unused:UNUSED_PAD src0_sel:WORD_1 src1_sel:DWORD
	v_cvt_f32_f16_e32 v2, v2
	v_fma_f16 v0, v51, v4, -v0
	v_cvt_f64_f32_e32 v[2:3], v2
	v_cvt_f32_f16_e32 v0, v0
	v_cvt_f64_f32_e32 v[4:5], v0
	v_mul_f64 v[2:3], v[2:3], s[20:21]
	v_mul_f64 v[4:5], v[4:5], s[20:21]
	v_and_or_b32 v0, 0x1ff, v3, v2
	v_lshrrev_b32_e32 v2, 8, v3
	v_bfe_u32 v6, v3, 20, 11
	v_cmp_ne_u32_e64 s0, 0, v0
	v_and_or_b32 v4, 0x1ff, v5, v4
	v_lshrrev_b32_e32 v9, 8, v5
	v_bfe_u32 v10, v5, 20, 11
	v_add_nc_u32_e32 v12, 0xfffffc10, v6
	v_cndmask_b32_e64 v0, 0, 1, s0
	v_cmp_ne_u32_e64 s0, 0, v4
	v_lshrrev_b32_e32 v5, 16, v5
	v_add_nc_u32_e32 v16, 0xfffffc10, v10
	v_and_or_b32 v0, 0xffe, v2, v0
	v_sub_nc_u32_e32 v2, 0x3f1, v6
	v_cndmask_b32_e64 v4, 0, 1, s0
	v_mul_f16_sdwa v6, v50, v11 dst_sel:DWORD dst_unused:UNUSED_PAD src0_sel:WORD_1 src1_sel:DWORD
	v_cmp_gt_i32_e64 s2, 1, v16
	v_or_b32_e32 v7, 0x1000, v0
	v_med3_i32 v2, v2, 0, 13
	v_and_or_b32 v4, 0xffe, v9, v4
	v_sub_nc_u32_e32 v9, 0x3f1, v10
	v_fmac_f16_e32 v6, v50, v1
	v_mul_f16_sdwa v1, v50, v1 dst_sel:DWORD dst_unused:UNUSED_PAD src0_sel:WORD_1 src1_sel:DWORD
	v_lshrrev_b32_e32 v8, v2, v7
	v_or_b32_e32 v13, 0x1000, v4
	v_cvt_f32_f16_e32 v6, v6
	v_fma_f16 v1, v50, v11, -v1
	v_lshlrev_b32_e32 v2, v2, v8
	v_cmp_ne_u32_e64 s0, v2, v7
	v_med3_i32 v7, v9, 0, 13
	v_cndmask_b32_e64 v2, 0, 1, s0
	v_lshrrev_b32_e32 v14, v7, v13
	v_cmp_gt_i32_e64 s0, 1, v12
	v_or_b32_e32 v2, v8, v2
	v_lshl_or_b32 v8, v12, 12, v0
	v_cndmask_b32_e64 v2, v8, v2, s0
	v_lshlrev_b32_e32 v8, v7, v14
	v_cvt_f64_f32_e32 v[6:7], v6
	v_and_b32_e32 v15, 7, v2
	v_cmp_ne_u32_e64 s0, v8, v13
	v_lshrrev_b32_e32 v2, 2, v2
	v_mad_u64_u32 v[8:9], null, s10, v28, 0
	v_cmp_eq_u32_e64 s1, 3, v15
	v_cndmask_b32_e64 v13, 0, 1, s0
	v_cmp_lt_i32_e64 s0, 5, v15
	v_or_b32_e32 v10, v14, v13
	v_lshl_or_b32 v13, v16, 12, v4
	s_or_b32 s0, s1, s0
	v_add_co_ci_u32_e64 v11, s0, 0, v2, s0
	v_cvt_f32_f16_e32 v2, v1
	v_cndmask_b32_e64 v10, v13, v10, s2
	v_cmp_ne_u32_e64 s0, 0, v0
	v_mul_f64 v[0:1], v[6:7], s[20:21]
	v_cmp_eq_u32_e64 s2, 0x40f, v12
	v_cvt_f64_f32_e32 v[6:7], v2
	v_and_b32_e32 v14, 7, v10
	v_cndmask_b32_e64 v13, 0, 1, s0
	v_cmp_gt_i32_e64 s0, 31, v12
	v_mov_b32_e32 v2, v9
	v_lshrrev_b32_e32 v10, 2, v10
	v_cmp_eq_u32_e64 s1, 3, v14
	v_cndmask_b32_e64 v9, 0x7c00, v11, s0
	v_cmp_lt_i32_e64 s0, 5, v14
	v_lshl_or_b32 v11, v13, 9, 0x7c00
	s_or_b32 s0, s1, s0
	v_cndmask_b32_e64 v9, v9, v11, s2
	v_add_co_ci_u32_e64 v10, s0, 0, v10, s0
	v_lshrrev_b32_e32 v11, 16, v3
	v_cmp_gt_i32_e64 s0, 31, v16
	v_and_or_b32 v0, 0x1ff, v1, v0
	v_mad_u64_u32 v[2:3], null, s11, v28, v[2:3]
	v_and_or_b32 v13, 0x8000, v11, v9
	v_cndmask_b32_e64 v9, 0x7c00, v10, s0
	v_cmp_ne_u32_e64 s0, 0, v4
	v_mul_f64 v[3:4], v[6:7], s[20:21]
	ds_read2_b32 v[6:7], v32 offset0:82 offset1:251
	v_mad_u64_u32 v[10:11], null, s8, v49, 0
	v_cndmask_b32_e64 v12, 0, 1, s0
	v_cmp_ne_u32_e64 s0, 0, v0
	v_lshrrev_b32_e32 v15, 8, v1
	v_bfe_u32 v17, v1, 20, 11
	v_lshl_or_b32 v12, v12, 9, 0x7c00
	v_cndmask_b32_e64 v14, 0, 1, s0
	v_cmp_eq_u32_e64 s0, 0x40f, v16
	v_mov_b32_e32 v0, v11
	v_and_or_b32 v14, 0xffe, v15, v14
	v_cndmask_b32_e64 v16, v9, v12, s0
	v_sub_nc_u32_e32 v9, 0x3f1, v17
	v_mad_u64_u32 v[11:12], null, s9, v49, v[0:1]
	v_or_b32_e32 v0, 0x1000, v14
	v_add_nc_u32_e32 v17, 0xfffffc10, v17
	v_med3_i32 v12, v9, 0, 13
	v_mov_b32_e32 v9, v2
	v_and_or_b32 v2, 0x8000, v5, v16
	v_and_b32_e32 v5, 0xffff, v13
	s_waitcnt lgkmcnt(0)
	v_lshrrev_b32_e32 v13, 16, v6
	v_lshrrev_b32_e32 v15, v12, v0
	v_and_or_b32 v3, 0x1ff, v4, v3
	v_bfe_u32 v18, v4, 20, 11
	v_lshl_or_b32 v16, v2, 16, v5
	v_mul_f16_sdwa v2, v48, v13 dst_sel:DWORD dst_unused:UNUSED_PAD src0_sel:WORD_1 src1_sel:DWORD
	v_lshlrev_b32_e32 v5, v12, v15
	v_cmp_ne_u32_e64 s0, 0, v3
	v_lshrrev_b32_e32 v12, 8, v4
	v_lshlrev_b64 v[8:9], 2, v[8:9]
	v_fmac_f16_e32 v2, v48, v6
	v_lshlrev_b64 v[10:11], 2, v[10:11]
	v_cndmask_b32_e64 v3, 0, 1, s0
	v_cmp_ne_u32_e64 s0, v5, v0
	v_sub_nc_u32_e32 v5, 0x3f1, v18
	v_cvt_f32_f16_e32 v2, v2
	v_mul_f16_sdwa v6, v48, v6 dst_sel:DWORD dst_unused:UNUSED_PAD src0_sel:WORD_1 src1_sel:DWORD
	v_and_or_b32 v12, 0xffe, v12, v3
	v_cndmask_b32_e64 v0, 0, 1, s0
	v_med3_i32 v5, v5, 0, 13
	v_cvt_f64_f32_e32 v[2:3], v2
	v_cmp_gt_i32_e64 s0, 1, v17
	v_or_b32_e32 v19, 0x1000, v12
	v_or_b32_e32 v0, v15, v0
	v_lshl_or_b32 v15, v17, 12, v14
	v_fma_f16 v6, v48, v13, -v6
	v_lshrrev_b32_e32 v1, 16, v1
	v_lshrrev_b32_e32 v4, 16, v4
	v_cndmask_b32_e64 v0, v15, v0, s0
	v_lshrrev_b32_e32 v15, v5, v19
	v_add_co_u32 v8, s0, s6, v8
	v_add_co_ci_u32_e64 v9, s0, s7, v9, s0
	v_lshlrev_b32_e32 v5, v5, v15
	v_add_co_u32 v8, s0, v8, v10
	v_add_co_ci_u32_e64 v9, s0, v9, v11, s0
	v_cmp_ne_u32_e64 s0, v5, v19
	v_and_b32_e32 v20, 7, v0
	v_add_nc_u32_e32 v10, 0xfffffc10, v18
	v_mul_f64 v[2:3], v[2:3], s[20:21]
	v_lshrrev_b32_e32 v0, 2, v0
	v_cndmask_b32_e64 v5, 0, 1, s0
	v_cmp_lt_i32_e64 s0, 5, v20
	v_cmp_eq_u32_e64 s1, 3, v20
	v_lshl_or_b32 v11, v10, 12, v12
	v_cmp_gt_i32_e64 s2, 1, v10
	v_or_b32_e32 v5, v15, v5
	global_store_dword v[8:9], v16, off
	s_or_b32 s0, s1, s0
	v_add_co_ci_u32_e64 v0, s0, 0, v0, s0
	v_cndmask_b32_e64 v11, v11, v5, s2
	v_cmp_ne_u32_e64 s0, 0, v14
	v_cvt_f32_f16_e32 v5, v6
	v_cmp_eq_u32_e64 s2, 0x40f, v17
	v_and_b32_e32 v14, 7, v11
	v_cndmask_b32_e64 v13, 0, 1, s0
	v_cmp_gt_i32_e64 s0, 31, v17
	v_cvt_f64_f32_e32 v[5:6], v5
	v_lshrrev_b32_e32 v11, 2, v11
	v_cmp_eq_u32_e64 s1, 3, v14
	v_and_or_b32 v2, 0x1ff, v3, v2
	v_cndmask_b32_e64 v0, 0x7c00, v0, s0
	v_cmp_lt_i32_e64 s0, 5, v14
	v_lshl_or_b32 v13, v13, 9, 0x7c00
	v_bfe_u32 v14, v3, 20, 11
	s_or_b32 s0, s1, s0
	v_cndmask_b32_e64 v0, v0, v13, s2
	v_add_co_ci_u32_e64 v11, s0, 0, v11, s0
	v_cmp_ne_u32_e64 s0, 0, v2
	v_lshrrev_b32_e32 v13, 8, v3
	v_sub_nc_u32_e32 v15, 0x3f1, v14
	v_add_nc_u32_e32 v14, 0xfffffc10, v14
	s_mul_i32 s1, s9, 0xa9
	v_cndmask_b32_e64 v2, 0, 1, s0
	v_cmp_gt_i32_e64 s0, 31, v10
	v_med3_i32 v15, v15, 0, 13
	v_mul_f64 v[5:6], v[5:6], s[20:21]
	s_mul_hi_u32 s2, s8, 0xa9
	v_and_or_b32 v2, 0xffe, v13, v2
	v_cndmask_b32_e64 v11, 0x7c00, v11, s0
	v_cmp_ne_u32_e64 s0, 0, v12
	v_lshrrev_b32_e32 v13, 16, v7
	s_add_i32 s3, s2, s1
	v_or_b32_e32 v17, 0x1000, v2
	s_mul_i32 s2, s8, 0xa9
	v_cndmask_b32_e64 v12, 0, 1, s0
	v_mul_f16_sdwa v18, v47, v13 dst_sel:DWORD dst_unused:UNUSED_PAD src0_sel:WORD_1 src1_sel:DWORD
	v_cmp_eq_u32_e64 s0, 0x40f, v10
	s_lshl_b64 s[22:23], s[2:3], 2
	v_lshl_or_b32 v12, v12, 9, 0x7c00
	v_fmac_f16_e32 v18, v47, v7
	v_mul_f16_sdwa v7, v47, v7 dst_sel:DWORD dst_unused:UNUSED_PAD src0_sel:WORD_1 src1_sel:DWORD
	v_cndmask_b32_e64 v10, v11, v12, s0
	v_lshrrev_b32_e32 v11, v15, v17
	v_and_or_b32 v12, 0x8000, v1, v0
	v_cvt_f32_f16_e32 v0, v18
	v_and_or_b32 v5, 0x1ff, v6, v5
	v_and_or_b32 v4, 0x8000, v4, v10
	v_lshlrev_b32_e32 v15, v15, v11
	v_and_b32_e32 v12, 0xffff, v12
	v_cvt_f64_f32_e32 v[0:1], v0
	v_bfe_u32 v16, v6, 20, 11
	v_cmp_ne_u32_e64 s0, v15, v17
	v_lshrrev_b32_e32 v15, 8, v6
	v_lshl_or_b32 v12, v4, 16, v12
	v_sub_nc_u32_e32 v4, 0x3f1, v16
	v_lshrrev_b32_e32 v6, 16, v6
	v_cndmask_b32_e64 v10, 0, 1, s0
	v_cmp_ne_u32_e64 s0, 0, v5
	v_med3_i32 v18, v4, 0, 13
	v_or_b32_e32 v10, v11, v10
	v_lshl_or_b32 v11, v14, 12, v2
	v_cndmask_b32_e64 v5, 0, 1, s0
	v_cmp_gt_i32_e64 s0, 1, v14
	v_cndmask_b32_e64 v10, v11, v10, s0
	v_and_or_b32 v11, 0xffe, v15, v5
	v_mul_f64 v[0:1], v[0:1], s[20:21]
	v_add_co_u32 v4, s0, v8, s22
	v_and_b32_e32 v15, 7, v10
	v_or_b32_e32 v17, 0x1000, v11
	v_add_co_ci_u32_e64 v5, s0, s23, v9, s0
	v_lshrrev_b32_e32 v8, 2, v10
	v_cmp_lt_i32_e64 s0, 5, v15
	v_lshrrev_b32_e32 v19, v18, v17
	v_cmp_eq_u32_e64 s1, 3, v15
	global_store_dword v[4:5], v12, off
	v_fma_f16 v10, v47, v13, -v7
	v_add_nc_u32_e32 v15, 0xfffffc10, v16
	v_lshlrev_b32_e32 v9, v18, v19
	s_or_b32 s0, s1, s0
	v_add_co_ci_u32_e64 v12, s0, 0, v8, s0
	v_cmp_ne_u32_e64 s0, v9, v17
	ds_read2_b32 v[7:8], v31 offset0:36 offset1:205
	v_cvt_f32_f16_e32 v9, v10
	v_and_or_b32 v0, 0x1ff, v1, v0
	v_lshl_or_b32 v16, v15, 12, v11
	v_cndmask_b32_e64 v13, 0, 1, s0
	v_cmp_gt_i32_e64 s0, 31, v14
	v_cvt_f64_f32_e32 v[9:10], v9
	v_lshrrev_b32_e32 v17, 8, v1
	v_bfe_u32 v18, v1, 20, 11
	v_or_b32_e32 v13, v19, v13
	v_cndmask_b32_e64 v12, 0x7c00, v12, s0
	v_cmp_ne_u32_e64 s0, 0, v0
	v_cndmask_b32_e64 v0, 0, 1, s0
	v_cmp_ne_u32_e64 s0, 0, v2
	v_and_or_b32 v0, 0xffe, v17, v0
	v_cndmask_b32_e64 v2, 0, 1, s0
	v_cmp_gt_i32_e64 s0, 1, v15
	s_waitcnt lgkmcnt(0)
	v_lshrrev_b32_e32 v17, 16, v7
	v_or_b32_e32 v20, 0x1000, v0
	v_lshl_or_b32 v2, v2, 9, 0x7c00
	v_cndmask_b32_e64 v13, v16, v13, s0
	v_sub_nc_u32_e32 v16, 0x3f1, v18
	v_cmp_eq_u32_e64 s0, 0x40f, v14
	v_mul_f16_sdwa v21, v46, v17 dst_sel:DWORD dst_unused:UNUSED_PAD src0_sel:WORD_1 src1_sel:DWORD
	v_mul_f64 v[9:10], v[9:10], s[20:21]
	v_and_b32_e32 v19, 7, v13
	v_med3_i32 v16, v16, 0, 13
	v_cndmask_b32_e64 v12, v12, v2, s0
	v_lshrrev_b32_e32 v2, 2, v13
	v_fmac_f16_e32 v21, v46, v7
	v_cmp_lt_i32_e64 s0, 5, v19
	v_cmp_eq_u32_e64 s1, 3, v19
	v_lshrrev_b32_e32 v14, v16, v20
	v_lshrrev_b32_e32 v19, 16, v3
	v_cvt_f32_f16_e32 v3, v21
	v_add_nc_u32_e32 v18, 0xfffffc10, v18
	s_or_b32 s0, s1, s0
	v_lshlrev_b32_e32 v13, v16, v14
	v_add_co_ci_u32_e64 v16, s0, 0, v2, s0
	v_cmp_ne_u32_e64 s0, 0, v11
	v_cvt_f64_f32_e32 v[2:3], v3
	v_and_or_b32 v12, 0x8000, v19, v12
	v_mul_f16_sdwa v7, v46, v7 dst_sel:DWORD dst_unused:UNUSED_PAD src0_sel:WORD_1 src1_sel:DWORD
	v_lshrrev_b32_e32 v21, 16, v8
	v_cndmask_b32_e64 v11, 0, 1, s0
	v_cmp_ne_u32_e64 s0, v13, v20
	v_and_or_b32 v9, 0x1ff, v10, v9
	v_and_b32_e32 v12, 0xffff, v12
	v_fma_f16 v7, v46, v17, -v7
	v_lshl_or_b32 v11, v11, 9, 0x7c00
	v_cndmask_b32_e64 v13, 0, 1, s0
	v_cmp_gt_i32_e64 s0, 31, v15
	v_cvt_f32_f16_e32 v7, v7
	v_or_b32_e32 v13, v14, v13
	v_cndmask_b32_e64 v16, 0x7c00, v16, s0
	v_cmp_eq_u32_e64 s0, 0x40f, v15
	v_lshl_or_b32 v14, v18, 12, v0
	v_bfe_u32 v15, v10, 20, 11
	v_cndmask_b32_e64 v11, v16, v11, s0
	v_cmp_gt_i32_e64 s0, 1, v18
	v_mul_f64 v[2:3], v[2:3], s[20:21]
	v_and_or_b32 v6, 0x8000, v6, v11
	v_cndmask_b32_e64 v13, v14, v13, s0
	v_cmp_ne_u32_e64 s0, 0, v9
	v_lshrrev_b32_e32 v14, 8, v10
	v_lshrrev_b32_e32 v10, 16, v10
	v_lshl_or_b32 v12, v6, 16, v12
	v_and_b32_e32 v16, 7, v13
	v_cndmask_b32_e64 v9, 0, 1, s0
	v_lshrrev_b32_e32 v13, 2, v13
	v_cmp_lt_i32_e64 s0, 5, v16
	v_and_or_b32 v9, 0xffe, v14, v9
	v_sub_nc_u32_e32 v14, 0x3f1, v15
	v_cmp_eq_u32_e64 s1, 3, v16
	v_or_b32_e32 v11, 0x1000, v9
	v_med3_i32 v14, v14, 0, 13
	s_or_b32 s0, s1, s0
	v_and_or_b32 v2, 0x1ff, v3, v2
	v_add_co_ci_u32_e64 v13, s0, 0, v13, s0
	v_lshrrev_b32_e32 v16, v14, v11
	v_cmp_gt_i32_e64 s0, 31, v18
	v_bfe_u32 v17, v3, 20, 11
	v_lshlrev_b32_e32 v6, v14, v16
	v_cndmask_b32_e64 v13, 0x7c00, v13, s0
	v_add_nc_u32_e32 v14, 0xfffffc10, v15
	v_lshrrev_b32_e32 v15, 8, v3
	v_lshrrev_b32_e32 v3, 16, v3
	v_cmp_ne_u32_e64 s0, v6, v11
	v_cvt_f64_f32_e32 v[6:7], v7
	v_cndmask_b32_e64 v11, 0, 1, s0
	v_cmp_ne_u32_e64 s0, 0, v2
	v_or_b32_e32 v11, v16, v11
	v_cndmask_b32_e64 v2, 0, 1, s0
	v_cmp_ne_u32_e64 s0, 0, v0
	v_lshl_or_b32 v16, v14, 12, v9
	v_and_or_b32 v2, 0xffe, v15, v2
	v_cndmask_b32_e64 v0, 0, 1, s0
	v_cmp_gt_i32_e64 s0, 1, v14
	v_sub_nc_u32_e32 v15, 0x3f1, v17
	v_lshl_or_b32 v0, v0, 9, 0x7c00
	v_cndmask_b32_e64 v11, v16, v11, s0
	v_cmp_eq_u32_e64 s0, 0x40f, v18
	v_or_b32_e32 v16, 0x1000, v2
	v_med3_i32 v15, v15, 0, 13
	v_lshrrev_b32_e32 v18, 16, v1
	v_and_b32_e32 v19, 7, v11
	v_cndmask_b32_e64 v13, v13, v0, s0
	v_mul_f64 v[0:1], v[6:7], s[20:21]
	v_lshrrev_b32_e32 v20, v15, v16
	v_add_co_u32 v4, s0, v4, s22
	v_add_co_ci_u32_e64 v5, s0, s23, v5, s0
	v_lshlrev_b32_e32 v7, v15, v20
	v_mul_f16_sdwa v6, v45, v21 dst_sel:DWORD dst_unused:UNUSED_PAD src0_sel:WORD_1 src1_sel:DWORD
	v_cmp_lt_i32_e64 s0, 5, v19
	v_cmp_eq_u32_e64 s1, 3, v19
	v_lshrrev_b32_e32 v11, 2, v11
	v_cmp_ne_u32_e64 s2, v7, v16
	v_fmac_f16_e32 v6, v45, v8
	v_add_nc_u32_e32 v15, 0xfffffc10, v17
	s_or_b32 s0, s1, s0
	v_and_or_b32 v13, 0x8000, v18, v13
	v_add_co_ci_u32_e64 v11, s0, 0, v11, s0
	v_cndmask_b32_e64 v7, 0, 1, s2
	v_cmp_ne_u32_e64 s0, 0, v9
	v_cvt_f32_f16_e32 v6, v6
	v_lshl_or_b32 v17, v15, 12, v2
	v_and_or_b32 v0, 0x1ff, v1, v0
	v_or_b32_e32 v16, v20, v7
	v_cndmask_b32_e64 v9, 0, 1, s0
	v_cmp_gt_i32_e64 s0, 1, v15
	v_cvt_f64_f32_e32 v[6:7], v6
	v_bfe_u32 v18, v1, 20, 11
	v_and_b32_e32 v13, 0xffff, v13
	v_lshl_or_b32 v9, v9, 9, 0x7c00
	v_cndmask_b32_e64 v16, v17, v16, s0
	v_cmp_ne_u32_e64 s0, 0, v0
	v_lshrrev_b32_e32 v17, 8, v1
	v_mul_f16_sdwa v8, v45, v8 dst_sel:DWORD dst_unused:UNUSED_PAD src0_sel:WORD_1 src1_sel:DWORD
	v_and_b32_e32 v19, 7, v16
	v_cndmask_b32_e64 v0, 0, 1, s0
	v_cmp_gt_i32_e64 s0, 31, v14
	v_fma_f16 v8, v45, v21, -v8
	v_cmp_eq_u32_e64 s1, 3, v19
	v_and_or_b32 v0, 0xffe, v17, v0
	v_cndmask_b32_e64 v11, 0x7c00, v11, s0
	v_cmp_eq_u32_e64 s0, 0x40f, v14
	ds_read_b32 v17, v43 offset:4056
	v_cvt_f32_f16_e32 v8, v8
	v_or_b32_e32 v14, 0x1000, v0
	v_cndmask_b32_e64 v9, v11, v9, s0
	v_sub_nc_u32_e32 v11, 0x3f1, v18
	v_cmp_lt_i32_e64 s0, 5, v19
	v_mul_f64 v[6:7], v[6:7], s[20:21]
	v_and_or_b32 v9, 0x8000, v10, v9
	v_lshrrev_b32_e32 v10, 2, v16
	v_med3_i32 v11, v11, 0, 13
	s_or_b32 s0, s1, s0
	v_lshl_or_b32 v13, v9, 16, v13
	v_add_co_ci_u32_e64 v10, s0, 0, v10, s0
	v_lshrrev_b32_e32 v16, v11, v14
	v_cmp_ne_u32_e64 s0, 0, v2
	v_lshlrev_b32_e32 v9, v11, v16
	v_cndmask_b32_e64 v2, 0, 1, s0
	v_cmp_gt_i32_e64 s0, 31, v15
	v_lshl_or_b32 v2, v2, 9, 0x7c00
	v_cndmask_b32_e64 v10, 0x7c00, v10, s0
	v_cmp_ne_u32_e64 s0, v9, v14
	v_and_or_b32 v6, 0x1ff, v7, v6
	v_add_nc_u32_e32 v14, 0xfffffc10, v18
	v_cndmask_b32_e64 v9, 0, 1, s0
	v_cmp_eq_u32_e64 s0, 0x40f, v15
	v_lshl_or_b32 v11, v14, 12, v0
	v_lshrrev_b32_e32 v15, 8, v7
	v_cndmask_b32_e64 v2, v10, v2, s0
	v_cmp_ne_u32_e64 s0, 0, v6
	v_or_b32_e32 v10, v16, v9
	v_bfe_u32 v16, v7, 20, 11
	v_cvt_f64_f32_e32 v[8:9], v8
	v_and_or_b32 v23, 0x8000, v3, v2
	v_cndmask_b32_e64 v6, 0, 1, s0
	v_cmp_gt_i32_e64 s0, 1, v14
	v_lshrrev_b32_e32 v7, 16, v7
	v_and_or_b32 v6, 0xffe, v15, v6
	v_cndmask_b32_e64 v18, v11, v10, s0
	v_sub_nc_u32_e32 v10, 0x3f1, v16
	s_waitcnt lgkmcnt(0)
	v_lshrrev_b32_e32 v15, 16, v17
	v_add_nc_u32_e32 v16, 0xfffffc10, v16
	v_or_b32_e32 v20, 0x1000, v6
	v_and_b32_e32 v19, 7, v18
	v_med3_i32 v21, v10, 0, 13
	v_mul_f16_sdwa v22, v44, v15 dst_sel:DWORD dst_unused:UNUSED_PAD src0_sel:WORD_1 src1_sel:DWORD
	v_add_co_u32 v10, s0, v4, s22
	v_add_co_ci_u32_e64 v11, s0, s23, v5, s0
	v_lshrrev_b32_e32 v28, v21, v20
	v_fmac_f16_e32 v22, v44, v17
	v_cmp_lt_i32_e64 s0, 5, v19
	v_cmp_eq_u32_e64 s1, 3, v19
	v_lshrrev_b32_e32 v18, 2, v18
	v_lshlrev_b32_e32 v19, v21, v28
	v_cvt_f32_f16_e32 v21, v22
	v_mul_f64 v[2:3], v[8:9], s[20:21]
	s_or_b32 s0, s1, s0
	v_mul_f16_sdwa v17, v44, v17 dst_sel:DWORD dst_unused:UNUSED_PAD src0_sel:WORD_1 src1_sel:DWORD
	v_add_co_ci_u32_e64 v18, s0, 0, v18, s0
	v_cmp_ne_u32_e64 s0, v19, v20
	v_cvt_f64_f32_e32 v[8:9], v21
	v_lshl_or_b32 v20, v16, 12, v6
	v_fma_f16 v15, v44, v15, -v17
	v_cndmask_b32_e64 v19, 0, 1, s0
	v_cmp_ne_u32_e64 s0, 0, v0
	v_cvt_f32_f16_e32 v15, v15
	v_or_b32_e32 v19, v28, v19
	v_cndmask_b32_e64 v0, 0, 1, s0
	v_cmp_gt_i32_e64 s0, 31, v14
	v_lshl_or_b32 v0, v0, 9, 0x7c00
	v_cndmask_b32_e64 v17, 0x7c00, v18, s0
	v_cmp_gt_i32_e64 s0, 1, v16
	v_and_or_b32 v2, 0x1ff, v3, v2
	v_cndmask_b32_e64 v18, v20, v19, s0
	v_cmp_eq_u32_e64 s0, 0x40f, v14
	v_mul_f64 v[8:9], v[8:9], s[20:21]
	v_lshrrev_b32_e32 v19, 8, v3
	v_bfe_u32 v20, v3, 20, 11
	v_lshrrev_b32_e32 v3, 16, v3
	v_cndmask_b32_e64 v14, v17, v0, s0
	v_lshrrev_b32_e32 v17, 16, v1
	v_cvt_f64_f32_e32 v[0:1], v15
	v_cmp_ne_u32_e64 s0, 0, v2
	v_and_b32_e32 v15, 7, v18
	v_and_or_b32 v14, 0x8000, v17, v14
	v_and_b32_e32 v17, 0xffff, v23
	v_cndmask_b32_e64 v2, 0, 1, s0
	v_cmp_lt_i32_e64 s0, 5, v15
	v_cmp_eq_u32_e64 s1, 3, v15
	v_lshrrev_b32_e32 v15, 2, v18
	v_lshl_or_b32 v14, v14, 16, v17
	v_and_or_b32 v2, 0xffe, v19, v2
	v_sub_nc_u32_e32 v19, 0x3f1, v20
	s_or_b32 s0, s1, s0
	v_add_co_ci_u32_e64 v15, s0, 0, v15, s0
	v_or_b32_e32 v17, 0x1000, v2
	v_med3_i32 v18, v19, 0, 13
	v_cmp_ne_u32_e64 s0, 0, v6
	v_and_or_b32 v8, 0x1ff, v9, v8
	v_lshrrev_b32_e32 v21, 8, v9
	v_mul_f64 v[0:1], v[0:1], s[20:21]
	v_lshrrev_b32_e32 v19, v18, v17
	v_cndmask_b32_e64 v6, 0, 1, s0
	v_cmp_gt_i32_e64 s0, 31, v16
	v_bfe_u32 v22, v9, 20, 11
	v_lshrrev_b32_e32 v9, 16, v9
	v_lshlrev_b32_e32 v18, v18, v19
	v_lshl_or_b32 v6, v6, 9, 0x7c00
	v_cndmask_b32_e64 v15, 0x7c00, v15, s0
	v_cmp_ne_u32_e64 s0, 0, v8
	v_cndmask_b32_e64 v8, 0, 1, s0
	v_cmp_ne_u32_e64 s0, v18, v17
	v_add_nc_u32_e32 v18, 0xfffffc10, v20
	v_sub_nc_u32_e32 v20, 0x3f1, v22
	v_and_or_b32 v8, 0xffe, v21, v8
	v_cndmask_b32_e64 v17, 0, 1, s0
	v_cmp_eq_u32_e64 s0, 0x40f, v16
	v_lshl_or_b32 v16, v18, 12, v2
	v_and_or_b32 v0, 0x1ff, v1, v0
	v_bfe_u32 v21, v1, 20, 11
	v_cndmask_b32_e64 v6, v15, v6, s0
	v_or_b32_e32 v15, v19, v17
	v_or_b32_e32 v17, 0x1000, v8
	v_med3_i32 v19, v20, 0, 13
	v_cmp_gt_i32_e64 s0, 1, v18
	v_lshrrev_b32_e32 v20, 8, v1
	v_and_or_b32 v6, 0x8000, v7, v6
	v_sub_nc_u32_e32 v7, 0x3f1, v21
	v_cndmask_b32_e64 v15, v16, v15, s0
	v_lshrrev_b32_e32 v16, v19, v17
	v_cmp_ne_u32_e64 s0, 0, v0
	v_med3_i32 v7, v7, 0, 13
	v_and_b32_e32 v23, 7, v15
	v_lshlrev_b32_e32 v19, v19, v16
	v_cndmask_b32_e64 v0, 0, 1, s0
	v_lshrrev_b32_e32 v15, 2, v15
	v_cmp_lt_i32_e64 s0, 5, v23
	v_cmp_ne_u32_e64 s1, v19, v17
	v_and_or_b32 v0, 0xffe, v20, v0
	v_add_nc_u32_e32 v20, 0xfffffc10, v22
	v_cndmask_b32_e64 v17, 0, 1, s1
	v_cmp_eq_u32_e64 s1, 3, v23
	v_or_b32_e32 v19, 0x1000, v0
	v_lshl_or_b32 v22, v20, 12, v8
	v_or_b32_e32 v16, v16, v17
	s_or_b32 s0, s1, s0
	v_lshrrev_b32_e32 v17, v7, v19
	v_add_co_ci_u32_e64 v15, s0, 0, v15, s0
	v_cmp_gt_i32_e64 s0, 1, v20
	v_lshlrev_b32_e32 v7, v7, v17
	v_cndmask_b32_e64 v16, v22, v16, s0
	v_cmp_ne_u32_e64 s0, 0, v2
	v_cndmask_b32_e64 v2, 0, 1, s0
	v_cmp_ne_u32_e64 s0, v7, v19
	v_add_nc_u32_e32 v19, 0xfffffc10, v21
	v_and_b32_e32 v21, 7, v16
	v_lshl_or_b32 v2, v2, 9, 0x7c00
	v_cndmask_b32_e64 v7, 0, 1, s0
	v_cmp_gt_i32_e64 s0, 31, v18
	v_cmp_gt_i32_e64 s2, 1, v19
	v_cmp_eq_u32_e64 s1, 3, v21
	v_or_b32_e32 v7, v17, v7
	v_lshl_or_b32 v17, v19, 12, v0
	v_cndmask_b32_e64 v15, 0x7c00, v15, s0
	v_cmp_lt_i32_e64 s0, 5, v21
	v_cndmask_b32_e64 v7, v17, v7, s2
	v_cmp_eq_u32_e64 s2, 0x40f, v18
	s_or_b32 s0, s1, s0
	v_cndmask_b32_e64 v2, v15, v2, s2
	v_lshrrev_b32_e32 v15, 2, v16
	v_and_b32_e32 v16, 7, v7
	v_lshrrev_b32_e32 v7, 2, v7
	v_cmp_gt_i32_e64 s2, 31, v20
	v_and_or_b32 v2, 0x8000, v3, v2
	v_add_co_ci_u32_e64 v15, s0, 0, v15, s0
	v_cmp_ne_u32_e64 s0, 0, v8
	v_cmp_eq_u32_e64 s1, 3, v16
	v_and_b32_e32 v3, 0xffff, v6
	v_cndmask_b32_e64 v15, 0x7c00, v15, s2
	v_cndmask_b32_e64 v8, 0, 1, s0
	v_cmp_lt_i32_e64 s0, 5, v16
	v_lshl_or_b32 v8, v8, 9, 0x7c00
	s_or_b32 s0, s1, s0
	v_add_co_ci_u32_e64 v7, s0, 0, v7, s0
	v_cmp_ne_u32_e64 s0, 0, v0
	v_cndmask_b32_e64 v0, 0, 1, s0
	v_cmp_eq_u32_e64 s0, 0x40f, v20
	v_lshl_or_b32 v0, v0, 9, 0x7c00
	v_cndmask_b32_e64 v8, v15, v8, s0
	v_cmp_gt_i32_e64 s0, 31, v19
	v_and_or_b32 v6, 0x8000, v9, v8
	v_cndmask_b32_e64 v7, 0x7c00, v7, s0
	v_cmp_eq_u32_e64 s0, 0x40f, v19
	v_lshrrev_b32_e32 v8, 16, v1
	v_lshl_or_b32 v9, v2, 16, v3
	v_and_b32_e32 v3, 0xffff, v6
	v_cndmask_b32_e64 v7, v7, v0, s0
	v_add_co_u32 v0, s0, v10, s22
	v_add_co_ci_u32_e64 v1, s0, s23, v11, s0
	v_and_or_b32 v2, 0x8000, v8, v7
	v_add_co_u32 v6, s0, v0, s22
	v_add_co_ci_u32_e64 v7, s0, s23, v1, s0
	v_lshl_or_b32 v8, v2, 16, v3
	v_add_co_u32 v2, s0, v6, s22
	v_add_co_ci_u32_e64 v3, s0, s23, v7, s0
	global_store_dword v[4:5], v12, off
	global_store_dword v[10:11], v13, off
	;; [unrolled: 1-line block ×5, first 2 shown]
	s_and_b32 exec_lo, exec_lo, vcc_lo
	s_cbranch_execz .LBB0_15
; %bb.14:
	s_clause 0x4
	global_load_dword v10, v[26:27], off offset:364
	global_load_dword v11, v[26:27], off offset:1040
	;; [unrolled: 1-line block ×5, first 2 shown]
	v_add_nc_u32_e32 v0, 0x100, v43
	v_add_nc_u32_e32 v1, 0x600, v43
	;; [unrolled: 1-line block ×3, first 2 shown]
	v_mad_u64_u32 v[2:3], null, 0xfffff194, s8, v[2:3]
	ds_read2_b32 v[4:5], v0 offset0:27 offset1:196
	ds_read2_b32 v[6:7], v1 offset0:45 offset1:214
	;; [unrolled: 1-line block ×3, first 2 shown]
	s_mul_i32 s0, s9, 0xfffff194
	s_sub_i32 s0, s0, s8
	v_add_nc_u32_e32 v3, s0, v3
	v_add_co_u32 v8, vcc_lo, v2, s22
	v_add_co_ci_u32_e32 v9, vcc_lo, s23, v3, vcc_lo
	s_waitcnt lgkmcnt(2)
	v_lshrrev_b32_e32 v15, 16, v4
	v_lshrrev_b32_e32 v16, 16, v5
	s_waitcnt lgkmcnt(1)
	v_lshrrev_b32_e32 v17, 16, v6
	v_lshrrev_b32_e32 v18, 16, v7
	s_waitcnt lgkmcnt(0)
	v_lshrrev_b32_e32 v19, 16, v0
	s_waitcnt vmcnt(4)
	v_mul_f16_sdwa v20, v15, v10 dst_sel:DWORD dst_unused:UNUSED_PAD src0_sel:DWORD src1_sel:WORD_1
	v_mul_f16_sdwa v21, v4, v10 dst_sel:DWORD dst_unused:UNUSED_PAD src0_sel:DWORD src1_sel:WORD_1
	s_waitcnt vmcnt(3)
	v_mul_f16_sdwa v22, v16, v11 dst_sel:DWORD dst_unused:UNUSED_PAD src0_sel:DWORD src1_sel:WORD_1
	v_mul_f16_sdwa v23, v5, v11 dst_sel:DWORD dst_unused:UNUSED_PAD src0_sel:DWORD src1_sel:WORD_1
	s_waitcnt vmcnt(2)
	v_mul_f16_sdwa v26, v17, v12 dst_sel:DWORD dst_unused:UNUSED_PAD src0_sel:DWORD src1_sel:WORD_1
	v_fmac_f16_e32 v20, v4, v10
	v_fma_f16 v4, v10, v15, -v21
	v_fmac_f16_e32 v22, v5, v11
	v_mul_f16_sdwa v27, v6, v12 dst_sel:DWORD dst_unused:UNUSED_PAD src0_sel:DWORD src1_sel:WORD_1
	s_waitcnt vmcnt(1)
	v_mul_f16_sdwa v28, v18, v13 dst_sel:DWORD dst_unused:UNUSED_PAD src0_sel:DWORD src1_sel:WORD_1
	v_cvt_f32_f16_e32 v5, v20
	v_cvt_f32_f16_e32 v10, v4
	v_mul_f16_sdwa v31, v7, v13 dst_sel:DWORD dst_unused:UNUSED_PAD src0_sel:DWORD src1_sel:WORD_1
	v_fma_f16 v16, v11, v16, -v23
	v_fmac_f16_e32 v26, v6, v12
	v_cvt_f64_f32_e32 v[4:5], v5
	v_cvt_f32_f16_e32 v6, v22
	v_cvt_f64_f32_e32 v[10:11], v10
	s_waitcnt vmcnt(0)
	v_mul_f16_sdwa v15, v19, v14 dst_sel:DWORD dst_unused:UNUSED_PAD src0_sel:DWORD src1_sel:WORD_1
	v_mul_f16_sdwa v21, v0, v14 dst_sel:DWORD dst_unused:UNUSED_PAD src0_sel:DWORD src1_sel:WORD_1
	v_fma_f16 v12, v12, v17, -v27
	v_fmac_f16_e32 v28, v7, v13
	v_fma_f16 v17, v13, v18, -v31
	v_cvt_f32_f16_e32 v13, v16
	v_cvt_f64_f32_e32 v[6:7], v6
	v_fmac_f16_e32 v15, v0, v14
	v_fma_f16 v0, v14, v19, -v21
	v_cvt_f32_f16_e32 v14, v26
	v_cvt_f32_f16_e32 v16, v12
	v_cvt_f64_f32_e32 v[12:13], v13
	v_cvt_f32_f16_e32 v22, v15
	v_cvt_f32_f16_e32 v18, v28
	v_cvt_f64_f32_e32 v[14:15], v14
	v_cvt_f32_f16_e32 v20, v17
	v_cvt_f64_f32_e32 v[16:17], v16
	v_add_co_u32 v31, vcc_lo, v8, s22
	v_mul_f64 v[4:5], v[4:5], s[20:21]
	v_cvt_f64_f32_e32 v[18:19], v18
	v_mul_f64 v[10:11], v[10:11], s[20:21]
	v_cvt_f64_f32_e32 v[20:21], v20
	v_add_co_ci_u32_e32 v32, vcc_lo, s23, v9, vcc_lo
	v_cvt_f32_f16_e32 v0, v0
	v_cvt_f64_f32_e32 v[22:23], v22
	v_add_co_u32 v33, vcc_lo, v31, s22
	v_mul_f64 v[6:7], v[6:7], s[20:21]
	v_add_co_ci_u32_e32 v34, vcc_lo, s23, v32, vcc_lo
	v_cvt_f64_f32_e32 v[26:27], v0
	v_mul_f64 v[12:13], v[12:13], s[20:21]
	v_add_co_u32 v35, vcc_lo, v33, s22
	v_mul_f64 v[14:15], v[14:15], s[20:21]
	v_add_co_ci_u32_e32 v36, vcc_lo, s23, v34, vcc_lo
	v_mul_f64 v[16:17], v[16:17], s[20:21]
	v_and_or_b32 v0, 0x1ff, v5, v4
	v_mul_f64 v[18:19], v[18:19], s[20:21]
	v_and_or_b32 v10, 0x1ff, v11, v10
	v_mul_f64 v[20:21], v[20:21], s[20:21]
	v_lshrrev_b32_e32 v4, 8, v5
	v_cmp_ne_u32_e32 vcc_lo, 0, v0
	v_bfe_u32 v28, v5, 20, 11
	v_mul_f64 v[22:23], v[22:23], s[20:21]
	v_lshrrev_b32_e32 v37, 8, v11
	v_bfe_u32 v38, v11, 20, 11
	v_and_or_b32 v6, 0x1ff, v7, v6
	v_cndmask_b32_e64 v0, 0, 1, vcc_lo
	v_cmp_ne_u32_e32 vcc_lo, 0, v10
	v_mul_f64 v[26:27], v[26:27], s[20:21]
	v_and_or_b32 v12, 0x1ff, v13, v12
	v_lshrrev_b32_e32 v39, 8, v7
	v_and_or_b32 v0, 0xffe, v4, v0
	v_cndmask_b32_e64 v10, 0, 1, vcc_lo
	v_cmp_ne_u32_e32 vcc_lo, 0, v6
	v_and_or_b32 v14, 0x1ff, v15, v14
	v_and_or_b32 v16, 0x1ff, v17, v16
	v_bfe_u32 v40, v7, 20, 11
	v_bfe_u32 v42, v13, 20, 11
	v_cndmask_b32_e64 v6, 0, 1, vcc_lo
	v_cmp_ne_u32_e32 vcc_lo, 0, v12
	v_and_or_b32 v18, 0x1ff, v19, v18
	v_and_or_b32 v20, 0x1ff, v21, v20
	v_sub_nc_u32_e32 v56, 0x3f1, v28
	v_add_nc_u32_e32 v28, 0xfffffc10, v28
	v_cndmask_b32_e64 v12, 0, 1, vcc_lo
	v_cmp_ne_u32_e32 vcc_lo, 0, v14
	v_and_or_b32 v22, 0x1ff, v23, v22
	v_sub_nc_u32_e32 v57, 0x3f1, v38
	v_and_or_b32 v10, 0xffe, v37, v10
	v_lshrrev_b32_e32 v41, 8, v13
	v_cndmask_b32_e64 v14, 0, 1, vcc_lo
	v_cmp_ne_u32_e32 vcc_lo, 0, v16
	v_and_or_b32 v26, 0x1ff, v27, v26
	v_bfe_u32 v45, v15, 20, 11
	v_bfe_u32 v47, v17, 20, 11
	v_add_nc_u32_e32 v38, 0xfffffc10, v38
	v_cndmask_b32_e64 v16, 0, 1, vcc_lo
	v_cmp_ne_u32_e32 vcc_lo, 0, v18
	v_sub_nc_u32_e32 v58, 0x3f1, v40
	v_sub_nc_u32_e32 v59, 0x3f1, v42
	v_med3_i32 v4, v56, 0, 13
	v_med3_i32 v37, v57, 0, 13
	v_cndmask_b32_e64 v18, 0, 1, vcc_lo
	v_cmp_ne_u32_e32 vcc_lo, 0, v20
	v_and_or_b32 v6, 0xffe, v39, v6
	v_or_b32_e32 v56, 0x1000, v0
	v_lshl_or_b32 v57, v28, 12, v0
	v_lshrrev_b32_e32 v44, 8, v15
	v_cndmask_b32_e64 v20, 0, 1, vcc_lo
	v_cmp_ne_u32_e32 vcc_lo, 0, v22
	v_lshrrev_b32_e32 v46, 8, v17
	v_bfe_u32 v49, v19, 20, 11
	v_bfe_u32 v51, v21, 20, 11
	v_add_nc_u32_e32 v40, 0xfffffc10, v40
	v_cndmask_b32_e64 v22, 0, 1, vcc_lo
	v_cmp_ne_u32_e32 vcc_lo, 0, v26
	v_sub_nc_u32_e32 v60, 0x3f1, v45
	v_sub_nc_u32_e32 v61, 0x3f1, v47
	v_med3_i32 v39, v58, 0, 13
	v_and_or_b32 v12, 0xffe, v41, v12
	v_cndmask_b32_e64 v26, 0, 1, vcc_lo
	v_cmp_ne_u32_e32 vcc_lo, 0, v0
	v_med3_i32 v41, v59, 0, 13
	v_or_b32_e32 v58, 0x1000, v10
	v_lshl_or_b32 v59, v38, 12, v10
	v_lshrrev_b32_e32 v48, 8, v19
	v_cndmask_b32_e64 v0, 0, 1, vcc_lo
	v_cmp_ne_u32_e32 vcc_lo, 0, v10
	v_lshrrev_b32_e32 v50, 8, v21
	v_bfe_u32 v53, v23, 20, 11
	v_bfe_u32 v55, v27, 20, 11
	v_add_nc_u32_e32 v42, 0xfffffc10, v42
	v_cndmask_b32_e64 v10, 0, 1, vcc_lo
	v_cmp_ne_u32_e32 vcc_lo, 0, v6
	v_sub_nc_u32_e32 v62, 0x3f1, v49
	v_sub_nc_u32_e32 v63, 0x3f1, v51
	v_and_or_b32 v14, 0xffe, v44, v14
	v_med3_i32 v44, v60, 0, 13
	v_and_or_b32 v16, 0xffe, v46, v16
	v_med3_i32 v46, v61, 0, 13
	v_or_b32_e32 v60, 0x1000, v6
	v_lshl_or_b32 v61, v40, 12, v6
	v_cndmask_b32_e64 v6, 0, 1, vcc_lo
	v_cmp_ne_u32_e32 vcc_lo, 0, v12
	v_lshrrev_b32_e32 v52, 8, v23
	v_lshrrev_b32_e32 v54, 8, v27
	v_add_nc_u32_e32 v45, 0xfffffc10, v45
	v_sub_nc_u32_e32 v64, 0x3f1, v53
	v_sub_nc_u32_e32 v65, 0x3f1, v55
	v_and_or_b32 v18, 0xffe, v48, v18
	v_med3_i32 v48, v62, 0, 13
	v_and_or_b32 v20, 0xffe, v50, v20
	v_med3_i32 v50, v63, 0, 13
	v_or_b32_e32 v62, 0x1000, v12
	v_lshl_or_b32 v63, v42, 12, v12
	v_cndmask_b32_e64 v12, 0, 1, vcc_lo
	v_cmp_ne_u32_e32 vcc_lo, 0, v14
	v_add_nc_u32_e32 v47, 0xfffffc10, v47
	v_and_or_b32 v22, 0xffe, v52, v22
	v_med3_i32 v52, v64, 0, 13
	v_and_or_b32 v26, 0xffe, v54, v26
	v_med3_i32 v54, v65, 0, 13
	v_or_b32_e32 v64, 0x1000, v14
	v_lshl_or_b32 v65, v45, 12, v14
	v_cndmask_b32_e64 v14, 0, 1, vcc_lo
	v_cmp_ne_u32_e32 vcc_lo, 0, v16
	v_add_nc_u32_e32 v49, 0xfffffc10, v49
	v_or_b32_e32 v66, 0x1000, v16
	v_lshl_or_b32 v67, v47, 12, v16
	v_add_nc_u32_e32 v51, 0xfffffc10, v51
	v_cndmask_b32_e64 v16, 0, 1, vcc_lo
	v_cmp_ne_u32_e32 vcc_lo, 0, v18
	v_or_b32_e32 v68, 0x1000, v18
	v_lshl_or_b32 v69, v49, 12, v18
	v_add_nc_u32_e32 v53, 0xfffffc10, v53
	v_or_b32_e32 v70, 0x1000, v20
	v_cndmask_b32_e64 v18, 0, 1, vcc_lo
	v_cmp_ne_u32_e32 vcc_lo, 0, v20
	v_lshl_or_b32 v71, v51, 12, v20
	v_lshrrev_b32_e32 v76, v4, v56
	v_add_nc_u32_e32 v55, 0xfffffc10, v55
	v_or_b32_e32 v72, 0x1000, v22
	v_cndmask_b32_e64 v20, 0, 1, vcc_lo
	v_cmp_ne_u32_e32 vcc_lo, 0, v22
	v_lshl_or_b32 v73, v53, 12, v22
	v_lshrrev_b32_e32 v77, v37, v58
	v_lshlrev_b32_e32 v4, v4, v76
	v_or_b32_e32 v74, 0x1000, v26
	v_cndmask_b32_e64 v22, 0, 1, vcc_lo
	v_cmp_ne_u32_e32 vcc_lo, 0, v26
	v_lshl_or_b32 v75, v55, 12, v26
	v_lshrrev_b32_e32 v78, v39, v60
	v_lshlrev_b32_e32 v37, v37, v77
	v_lshrrev_b32_e32 v79, v41, v62
	v_cndmask_b32_e64 v26, 0, 1, vcc_lo
	v_cmp_ne_u32_e32 vcc_lo, v4, v56
	v_lshlrev_b32_e32 v39, v39, v78
	v_lshrrev_b32_e32 v80, v44, v64
	v_lshlrev_b32_e32 v41, v41, v79
	v_lshrrev_b32_e32 v81, v46, v66
	v_cndmask_b32_e64 v4, 0, 1, vcc_lo
	v_cmp_ne_u32_e32 vcc_lo, v37, v58
	v_lshlrev_b32_e32 v44, v44, v80
	;; [unrolled: 6-line block ×4, first 2 shown]
	v_or_b32_e32 v4, v76, v4
	v_lshlrev_b32_e32 v54, v54, v85
	v_or_b32_e32 v37, v77, v37
	v_cndmask_b32_e64 v41, 0, 1, vcc_lo
	v_cmp_ne_u32_e32 vcc_lo, v44, v64
	v_or_b32_e32 v39, v78, v39
	v_lshl_or_b32 v0, v0, 9, 0x7c00
	v_lshl_or_b32 v10, v10, 9, 0x7c00
	v_or_b32_e32 v41, v79, v41
	v_cndmask_b32_e64 v44, 0, 1, vcc_lo
	v_cmp_ne_u32_e32 vcc_lo, v46, v66
	v_lshl_or_b32 v6, v6, 9, 0x7c00
	v_lshl_or_b32 v12, v12, 9, 0x7c00
	v_lshl_or_b32 v14, v14, 9, 0x7c00
	v_or_b32_e32 v44, v80, v44
	v_cndmask_b32_e64 v46, 0, 1, vcc_lo
	v_cmp_ne_u32_e32 vcc_lo, v48, v68
	v_lshl_or_b32 v16, v16, 9, 0x7c00
	;; [unrolled: 6-line block ×3, first 2 shown]
	v_lshrrev_b32_e32 v5, 16, v5
	v_lshrrev_b32_e32 v7, 16, v7
	v_or_b32_e32 v48, v82, v48
	v_cndmask_b32_e64 v50, 0, 1, vcc_lo
	v_cmp_ne_u32_e32 vcc_lo, v52, v72
	v_lshrrev_b32_e32 v15, 16, v15
	v_lshrrev_b32_e32 v11, 16, v11
	v_lshrrev_b32_e32 v19, 16, v19
	v_or_b32_e32 v50, v83, v50
	v_cndmask_b32_e64 v52, 0, 1, vcc_lo
	v_cmp_ne_u32_e32 vcc_lo, v54, v74
	v_lshrrev_b32_e32 v13, 16, v13
	v_lshrrev_b32_e32 v23, 16, v23
	v_lshl_or_b32 v26, v26, 9, 0x7c00
	v_or_b32_e32 v52, v84, v52
	v_cndmask_b32_e64 v54, 0, 1, vcc_lo
	v_cmp_gt_i32_e32 vcc_lo, 1, v28
	v_lshrrev_b32_e32 v17, 16, v17
	v_lshrrev_b32_e32 v21, 16, v21
	;; [unrolled: 1-line block ×3, first 2 shown]
	v_or_b32_e32 v54, v85, v54
	v_cndmask_b32_e32 v4, v57, v4, vcc_lo
	v_cmp_gt_i32_e32 vcc_lo, 1, v38
	v_and_b32_e32 v56, 7, v4
	v_cndmask_b32_e32 v37, v59, v37, vcc_lo
	v_cmp_gt_i32_e32 vcc_lo, 1, v40
	v_lshrrev_b32_e32 v4, 2, v4
	v_cmp_eq_u32_e64 s0, 3, v56
	v_and_b32_e32 v57, 7, v37
	v_cndmask_b32_e32 v39, v61, v39, vcc_lo
	v_cmp_gt_i32_e32 vcc_lo, 1, v42
	v_lshrrev_b32_e32 v37, 2, v37
	v_cmp_lt_i32_e64 s1, 5, v57
	v_and_b32_e32 v58, 7, v39
	v_cndmask_b32_e32 v41, v63, v41, vcc_lo
	v_cmp_gt_i32_e32 vcc_lo, 1, v45
	v_cmp_eq_u32_e64 s2, 3, v57
	v_lshrrev_b32_e32 v39, 2, v39
	v_cmp_lt_i32_e64 s3, 5, v58
	v_and_b32_e32 v59, 7, v41
	v_cndmask_b32_e32 v44, v65, v44, vcc_lo
	v_cmp_gt_i32_e32 vcc_lo, 1, v47
	v_cmp_eq_u32_e64 s4, 3, v58
	;; [unrolled: 6-line block ×6, first 2 shown]
	v_lshrrev_b32_e32 v50, 2, v50
	v_cmp_lt_i32_e64 s13, 5, v63
	v_and_b32_e32 v64, 7, v52
	v_cndmask_b32_e32 v54, v75, v54, vcc_lo
	v_cmp_lt_i32_e32 vcc_lo, 5, v56
	v_cmp_eq_u32_e64 s14, 3, v63
	v_lshrrev_b32_e32 v52, 2, v52
	v_cmp_lt_i32_e64 s15, 5, v64
	v_and_b32_e32 v65, 7, v54
	s_or_b32 vcc_lo, s0, vcc_lo
	v_cmp_eq_u32_e64 s16, 3, v64
	v_add_co_ci_u32_e32 v4, vcc_lo, 0, v4, vcc_lo
	s_or_b32 vcc_lo, s2, s1
	v_cmp_lt_i32_e64 s17, 5, v65
	v_add_co_ci_u32_e32 v37, vcc_lo, 0, v37, vcc_lo
	s_or_b32 vcc_lo, s4, s3
	v_cmp_eq_u32_e64 s18, 3, v65
	v_add_co_ci_u32_e32 v39, vcc_lo, 0, v39, vcc_lo
	s_or_b32 vcc_lo, s6, s5
	v_lshrrev_b32_e32 v54, 2, v54
	v_add_co_ci_u32_e32 v41, vcc_lo, 0, v41, vcc_lo
	s_or_b32 vcc_lo, s8, s7
	v_add_co_ci_u32_e32 v44, vcc_lo, 0, v44, vcc_lo
	s_or_b32 vcc_lo, s10, s9
	;; [unrolled: 2-line block ×6, first 2 shown]
	v_add_co_ci_u32_e32 v54, vcc_lo, 0, v54, vcc_lo
	v_cmp_gt_i32_e32 vcc_lo, 31, v28
	v_cndmask_b32_e32 v4, 0x7c00, v4, vcc_lo
	v_cmp_gt_i32_e32 vcc_lo, 31, v38
	v_cndmask_b32_e32 v37, 0x7c00, v37, vcc_lo
	;; [unrolled: 2-line block ×10, first 2 shown]
	v_cmp_eq_u32_e32 vcc_lo, 0x40f, v28
	v_cndmask_b32_e32 v0, v4, v0, vcc_lo
	v_cmp_eq_u32_e32 vcc_lo, 0x40f, v38
	v_and_or_b32 v0, 0x8000, v5, v0
	v_cndmask_b32_e32 v4, v37, v10, vcc_lo
	v_cmp_eq_u32_e32 vcc_lo, 0x40f, v40
	v_and_b32_e32 v0, 0xffff, v0
	v_and_or_b32 v4, 0x8000, v11, v4
	v_cndmask_b32_e32 v6, v39, v6, vcc_lo
	v_cmp_eq_u32_e32 vcc_lo, 0x40f, v42
	v_lshl_or_b32 v0, v4, 16, v0
	v_and_or_b32 v5, 0x8000, v7, v6
	v_cndmask_b32_e32 v10, v41, v12, vcc_lo
	v_cmp_eq_u32_e32 vcc_lo, 0x40f, v45
	v_and_b32_e32 v5, 0xffff, v5
	v_and_or_b32 v6, 0x8000, v13, v10
	v_cndmask_b32_e32 v12, v44, v14, vcc_lo
	v_cmp_eq_u32_e32 vcc_lo, 0x40f, v47
	v_lshl_or_b32 v4, v6, 16, v5
	;; [unrolled: 8-line block ×4, first 2 shown]
	v_and_or_b32 v13, 0x8000, v23, v20
	v_cndmask_b32_e32 v22, v54, v26, vcc_lo
	v_and_b32_e32 v13, 0xffff, v13
	v_and_or_b32 v14, 0x8000, v27, v22
	v_lshl_or_b32 v7, v14, 16, v13
	global_store_dword v[2:3], v0, off
	global_store_dword v[8:9], v4, off
	;; [unrolled: 1-line block ×5, first 2 shown]
	global_load_dword v0, v[24:25], off offset:1696
	v_lshrrev_b32_e32 v2, 16, v1
	s_waitcnt vmcnt(0)
	v_mul_f16_sdwa v3, v2, v0 dst_sel:DWORD dst_unused:UNUSED_PAD src0_sel:DWORD src1_sel:WORD_1
	v_mul_f16_sdwa v4, v1, v0 dst_sel:DWORD dst_unused:UNUSED_PAD src0_sel:DWORD src1_sel:WORD_1
	v_fmac_f16_e32 v3, v1, v0
	v_fma_f16 v0, v0, v2, -v4
	v_cvt_f32_f16_e32 v1, v3
	v_cvt_f32_f16_e32 v2, v0
	v_cvt_f64_f32_e32 v[0:1], v1
	v_cvt_f64_f32_e32 v[2:3], v2
	v_mul_f64 v[0:1], v[0:1], s[20:21]
	v_mul_f64 v[2:3], v[2:3], s[20:21]
	v_and_or_b32 v0, 0x1ff, v1, v0
	v_and_or_b32 v2, 0x1ff, v3, v2
	v_lshrrev_b32_e32 v4, 8, v1
	v_bfe_u32 v5, v1, 20, 11
	v_lshrrev_b32_e32 v6, 8, v3
	v_cmp_ne_u32_e32 vcc_lo, 0, v0
	v_bfe_u32 v7, v3, 20, 11
	v_lshrrev_b32_e32 v1, 16, v1
	v_sub_nc_u32_e32 v8, 0x3f1, v5
	v_add_nc_u32_e32 v5, 0xfffffc10, v5
	v_cndmask_b32_e64 v0, 0, 1, vcc_lo
	v_cmp_ne_u32_e32 vcc_lo, 0, v2
	v_lshrrev_b32_e32 v3, 16, v3
	v_and_or_b32 v0, 0xffe, v4, v0
	v_cndmask_b32_e64 v2, 0, 1, vcc_lo
	v_sub_nc_u32_e32 v4, 0x3f1, v7
	v_add_nc_u32_e32 v7, 0xfffffc10, v7
	v_and_or_b32 v2, 0xffe, v6, v2
	v_med3_i32 v6, v8, 0, 13
	v_or_b32_e32 v8, 0x1000, v0
	v_med3_i32 v4, v4, 0, 13
	v_or_b32_e32 v9, 0x1000, v2
	v_lshrrev_b32_e32 v10, v6, v8
	v_lshrrev_b32_e32 v11, v4, v9
	v_lshlrev_b32_e32 v6, v6, v10
	v_lshlrev_b32_e32 v4, v4, v11
	v_cmp_ne_u32_e32 vcc_lo, v6, v8
	v_lshl_or_b32 v8, v5, 12, v0
	v_cndmask_b32_e64 v6, 0, 1, vcc_lo
	v_cmp_ne_u32_e32 vcc_lo, v4, v9
	v_lshl_or_b32 v9, v7, 12, v2
	v_or_b32_e32 v6, v10, v6
	v_cndmask_b32_e64 v4, 0, 1, vcc_lo
	v_cmp_gt_i32_e32 vcc_lo, 1, v5
	v_or_b32_e32 v4, v11, v4
	v_cndmask_b32_e32 v6, v8, v6, vcc_lo
	v_cmp_gt_i32_e32 vcc_lo, 1, v7
	v_and_b32_e32 v8, 7, v6
	v_cndmask_b32_e32 v4, v9, v4, vcc_lo
	v_cmp_ne_u32_e32 vcc_lo, 0, v0
	v_lshrrev_b32_e32 v6, 2, v6
	v_cmp_eq_u32_e64 s0, 3, v8
	v_and_b32_e32 v9, 7, v4
	v_cndmask_b32_e64 v0, 0, 1, vcc_lo
	v_cmp_ne_u32_e32 vcc_lo, 0, v2
	v_lshrrev_b32_e32 v4, 2, v4
	v_cmp_lt_i32_e64 s1, 5, v9
	v_cmp_eq_u32_e64 s2, 3, v9
	v_cndmask_b32_e64 v2, 0, 1, vcc_lo
	v_cmp_lt_i32_e32 vcc_lo, 5, v8
	v_lshl_or_b32 v0, v0, 9, 0x7c00
	v_lshl_or_b32 v2, v2, 9, 0x7c00
	s_or_b32 vcc_lo, s0, vcc_lo
	v_add_co_ci_u32_e32 v6, vcc_lo, 0, v6, vcc_lo
	s_or_b32 vcc_lo, s2, s1
	v_add_co_ci_u32_e32 v4, vcc_lo, 0, v4, vcc_lo
	v_cmp_gt_i32_e32 vcc_lo, 31, v5
	v_cndmask_b32_e32 v6, 0x7c00, v6, vcc_lo
	v_cmp_gt_i32_e32 vcc_lo, 31, v7
	v_cndmask_b32_e32 v4, 0x7c00, v4, vcc_lo
	v_cmp_eq_u32_e32 vcc_lo, 0x40f, v5
	v_cndmask_b32_e32 v0, v6, v0, vcc_lo
	v_cmp_eq_u32_e32 vcc_lo, 0x40f, v7
	v_and_or_b32 v0, 0x8000, v1, v0
	v_cndmask_b32_e32 v2, v4, v2, vcc_lo
	v_and_or_b32 v2, 0x8000, v3, v2
	v_and_b32_e32 v3, 0xffff, v0
	v_add_co_u32 v0, vcc_lo, v35, s22
	v_add_co_ci_u32_e32 v1, vcc_lo, s23, v36, vcc_lo
	v_lshl_or_b32 v2, v2, 16, v3
	ds_read_b32 v3, v43 offset:4420
	global_store_dword v[0:1], v2, off
	global_load_dword v2, v[29:30], off offset:324
	s_waitcnt lgkmcnt(0)
	v_lshrrev_b32_e32 v4, 16, v3
	s_waitcnt vmcnt(0)
	v_mul_f16_sdwa v5, v4, v2 dst_sel:DWORD dst_unused:UNUSED_PAD src0_sel:DWORD src1_sel:WORD_1
	v_mul_f16_sdwa v6, v3, v2 dst_sel:DWORD dst_unused:UNUSED_PAD src0_sel:DWORD src1_sel:WORD_1
	v_fmac_f16_e32 v5, v3, v2
	v_fma_f16 v2, v2, v4, -v6
	v_cvt_f32_f16_e32 v3, v5
	v_cvt_f32_f16_e32 v4, v2
	v_cvt_f64_f32_e32 v[2:3], v3
	v_cvt_f64_f32_e32 v[4:5], v4
	v_mul_f64 v[2:3], v[2:3], s[20:21]
	v_mul_f64 v[4:5], v[4:5], s[20:21]
	v_and_or_b32 v2, 0x1ff, v3, v2
	v_and_or_b32 v4, 0x1ff, v5, v4
	v_lshrrev_b32_e32 v6, 8, v3
	v_bfe_u32 v7, v3, 20, 11
	v_lshrrev_b32_e32 v8, 8, v5
	v_cmp_ne_u32_e32 vcc_lo, 0, v2
	v_bfe_u32 v9, v5, 20, 11
	v_lshrrev_b32_e32 v3, 16, v3
	v_sub_nc_u32_e32 v10, 0x3f1, v7
	v_add_nc_u32_e32 v7, 0xfffffc10, v7
	v_cndmask_b32_e64 v2, 0, 1, vcc_lo
	v_cmp_ne_u32_e32 vcc_lo, 0, v4
	v_lshrrev_b32_e32 v5, 16, v5
	v_and_or_b32 v2, 0xffe, v6, v2
	v_cndmask_b32_e64 v4, 0, 1, vcc_lo
	v_sub_nc_u32_e32 v6, 0x3f1, v9
	v_add_nc_u32_e32 v9, 0xfffffc10, v9
	v_and_or_b32 v4, 0xffe, v8, v4
	v_med3_i32 v8, v10, 0, 13
	v_or_b32_e32 v10, 0x1000, v2
	v_med3_i32 v6, v6, 0, 13
	v_or_b32_e32 v11, 0x1000, v4
	v_lshrrev_b32_e32 v12, v8, v10
	v_lshrrev_b32_e32 v13, v6, v11
	v_lshlrev_b32_e32 v8, v8, v12
	v_lshlrev_b32_e32 v6, v6, v13
	v_cmp_ne_u32_e32 vcc_lo, v8, v10
	v_lshl_or_b32 v10, v7, 12, v2
	v_cndmask_b32_e64 v8, 0, 1, vcc_lo
	v_cmp_ne_u32_e32 vcc_lo, v6, v11
	v_lshl_or_b32 v11, v9, 12, v4
	v_or_b32_e32 v8, v12, v8
	v_cndmask_b32_e64 v6, 0, 1, vcc_lo
	v_cmp_gt_i32_e32 vcc_lo, 1, v7
	v_or_b32_e32 v6, v13, v6
	v_cndmask_b32_e32 v8, v10, v8, vcc_lo
	v_cmp_gt_i32_e32 vcc_lo, 1, v9
	v_and_b32_e32 v10, 7, v8
	v_cndmask_b32_e32 v6, v11, v6, vcc_lo
	v_cmp_ne_u32_e32 vcc_lo, 0, v2
	v_lshrrev_b32_e32 v8, 2, v8
	v_cmp_eq_u32_e64 s0, 3, v10
	v_and_b32_e32 v11, 7, v6
	v_cndmask_b32_e64 v2, 0, 1, vcc_lo
	v_cmp_ne_u32_e32 vcc_lo, 0, v4
	v_lshrrev_b32_e32 v6, 2, v6
	v_cmp_lt_i32_e64 s1, 5, v11
	v_cmp_eq_u32_e64 s2, 3, v11
	v_cndmask_b32_e64 v4, 0, 1, vcc_lo
	v_cmp_lt_i32_e32 vcc_lo, 5, v10
	v_lshl_or_b32 v2, v2, 9, 0x7c00
	v_lshl_or_b32 v4, v4, 9, 0x7c00
	s_or_b32 vcc_lo, s0, vcc_lo
	v_add_co_ci_u32_e32 v8, vcc_lo, 0, v8, vcc_lo
	s_or_b32 vcc_lo, s2, s1
	v_add_co_ci_u32_e32 v6, vcc_lo, 0, v6, vcc_lo
	v_cmp_gt_i32_e32 vcc_lo, 31, v7
	v_cndmask_b32_e32 v8, 0x7c00, v8, vcc_lo
	v_cmp_gt_i32_e32 vcc_lo, 31, v9
	v_cndmask_b32_e32 v6, 0x7c00, v6, vcc_lo
	v_cmp_eq_u32_e32 vcc_lo, 0x40f, v7
	v_cndmask_b32_e32 v2, v8, v2, vcc_lo
	v_cmp_eq_u32_e32 vcc_lo, 0x40f, v9
	v_and_or_b32 v2, 0x8000, v3, v2
	v_cndmask_b32_e32 v4, v6, v4, vcc_lo
	v_add_co_u32 v0, vcc_lo, v0, s22
	v_add_co_ci_u32_e32 v1, vcc_lo, s23, v1, vcc_lo
	v_and_or_b32 v3, 0x8000, v5, v4
	v_and_b32_e32 v2, 0xffff, v2
	v_lshl_or_b32 v2, v3, 16, v2
	global_store_dword v[0:1], v2, off
.LBB0_15:
	s_endpgm
	.section	.rodata,"a",@progbits
	.p2align	6, 0x0
	.amdhsa_kernel bluestein_single_back_len1183_dim1_half_op_CI_CI
		.amdhsa_group_segment_fixed_size 9464
		.amdhsa_private_segment_fixed_size 0
		.amdhsa_kernarg_size 104
		.amdhsa_user_sgpr_count 6
		.amdhsa_user_sgpr_private_segment_buffer 1
		.amdhsa_user_sgpr_dispatch_ptr 0
		.amdhsa_user_sgpr_queue_ptr 0
		.amdhsa_user_sgpr_kernarg_segment_ptr 1
		.amdhsa_user_sgpr_dispatch_id 0
		.amdhsa_user_sgpr_flat_scratch_init 0
		.amdhsa_user_sgpr_private_segment_size 0
		.amdhsa_wavefront_size32 1
		.amdhsa_uses_dynamic_stack 0
		.amdhsa_system_sgpr_private_segment_wavefront_offset 0
		.amdhsa_system_sgpr_workgroup_id_x 1
		.amdhsa_system_sgpr_workgroup_id_y 0
		.amdhsa_system_sgpr_workgroup_id_z 0
		.amdhsa_system_sgpr_workgroup_info 0
		.amdhsa_system_vgpr_workitem_id 0
		.amdhsa_next_free_vgpr 187
		.amdhsa_next_free_sgpr 24
		.amdhsa_reserve_vcc 1
		.amdhsa_reserve_flat_scratch 0
		.amdhsa_float_round_mode_32 0
		.amdhsa_float_round_mode_16_64 0
		.amdhsa_float_denorm_mode_32 3
		.amdhsa_float_denorm_mode_16_64 3
		.amdhsa_dx10_clamp 1
		.amdhsa_ieee_mode 1
		.amdhsa_fp16_overflow 0
		.amdhsa_workgroup_processor_mode 1
		.amdhsa_memory_ordered 1
		.amdhsa_forward_progress 0
		.amdhsa_shared_vgpr_count 0
		.amdhsa_exception_fp_ieee_invalid_op 0
		.amdhsa_exception_fp_denorm_src 0
		.amdhsa_exception_fp_ieee_div_zero 0
		.amdhsa_exception_fp_ieee_overflow 0
		.amdhsa_exception_fp_ieee_underflow 0
		.amdhsa_exception_fp_ieee_inexact 0
		.amdhsa_exception_int_div_zero 0
	.end_amdhsa_kernel
	.text
.Lfunc_end0:
	.size	bluestein_single_back_len1183_dim1_half_op_CI_CI, .Lfunc_end0-bluestein_single_back_len1183_dim1_half_op_CI_CI
                                        ; -- End function
	.section	.AMDGPU.csdata,"",@progbits
; Kernel info:
; codeLenInByte = 27584
; NumSgprs: 26
; NumVgprs: 187
; ScratchSize: 0
; MemoryBound: 0
; FloatMode: 240
; IeeeMode: 1
; LDSByteSize: 9464 bytes/workgroup (compile time only)
; SGPRBlocks: 3
; VGPRBlocks: 23
; NumSGPRsForWavesPerEU: 26
; NumVGPRsForWavesPerEU: 187
; Occupancy: 5
; WaveLimiterHint : 1
; COMPUTE_PGM_RSRC2:SCRATCH_EN: 0
; COMPUTE_PGM_RSRC2:USER_SGPR: 6
; COMPUTE_PGM_RSRC2:TRAP_HANDLER: 0
; COMPUTE_PGM_RSRC2:TGID_X_EN: 1
; COMPUTE_PGM_RSRC2:TGID_Y_EN: 0
; COMPUTE_PGM_RSRC2:TGID_Z_EN: 0
; COMPUTE_PGM_RSRC2:TIDIG_COMP_CNT: 0
	.text
	.p2alignl 6, 3214868480
	.fill 48, 4, 3214868480
	.type	__hip_cuid_1739d04b017f84af,@object ; @__hip_cuid_1739d04b017f84af
	.section	.bss,"aw",@nobits
	.globl	__hip_cuid_1739d04b017f84af
__hip_cuid_1739d04b017f84af:
	.byte	0                               ; 0x0
	.size	__hip_cuid_1739d04b017f84af, 1

	.ident	"AMD clang version 19.0.0git (https://github.com/RadeonOpenCompute/llvm-project roc-6.4.0 25133 c7fe45cf4b819c5991fe208aaa96edf142730f1d)"
	.section	".note.GNU-stack","",@progbits
	.addrsig
	.addrsig_sym __hip_cuid_1739d04b017f84af
	.amdgpu_metadata
---
amdhsa.kernels:
  - .args:
      - .actual_access:  read_only
        .address_space:  global
        .offset:         0
        .size:           8
        .value_kind:     global_buffer
      - .actual_access:  read_only
        .address_space:  global
        .offset:         8
        .size:           8
        .value_kind:     global_buffer
      - .actual_access:  read_only
        .address_space:  global
        .offset:         16
        .size:           8
        .value_kind:     global_buffer
      - .actual_access:  read_only
        .address_space:  global
        .offset:         24
        .size:           8
        .value_kind:     global_buffer
      - .actual_access:  read_only
        .address_space:  global
        .offset:         32
        .size:           8
        .value_kind:     global_buffer
      - .offset:         40
        .size:           8
        .value_kind:     by_value
      - .address_space:  global
        .offset:         48
        .size:           8
        .value_kind:     global_buffer
      - .address_space:  global
        .offset:         56
        .size:           8
        .value_kind:     global_buffer
      - .address_space:  global
        .offset:         64
        .size:           8
        .value_kind:     global_buffer
      - .address_space:  global
        .offset:         72
        .size:           8
        .value_kind:     global_buffer
      - .offset:         80
        .size:           4
        .value_kind:     by_value
      - .address_space:  global
        .offset:         88
        .size:           8
        .value_kind:     global_buffer
      - .address_space:  global
        .offset:         96
        .size:           8
        .value_kind:     global_buffer
    .group_segment_fixed_size: 9464
    .kernarg_segment_align: 8
    .kernarg_segment_size: 104
    .language:       OpenCL C
    .language_version:
      - 2
      - 0
    .max_flat_workgroup_size: 182
    .name:           bluestein_single_back_len1183_dim1_half_op_CI_CI
    .private_segment_fixed_size: 0
    .sgpr_count:     26
    .sgpr_spill_count: 0
    .symbol:         bluestein_single_back_len1183_dim1_half_op_CI_CI.kd
    .uniform_work_group_size: 1
    .uses_dynamic_stack: false
    .vgpr_count:     187
    .vgpr_spill_count: 0
    .wavefront_size: 32
    .workgroup_processor_mode: 1
amdhsa.target:   amdgcn-amd-amdhsa--gfx1030
amdhsa.version:
  - 1
  - 2
...

	.end_amdgpu_metadata
